;; amdgpu-corpus repo=zjin-lcf/HeCBench kind=compiled arch=gfx1250 opt=O3
	.amdgcn_target "amdgcn-amd-amdhsa--gfx1250"
	.amdhsa_code_object_version 6
	.text
	.protected	_Z11setupKernelPj       ; -- Begin function _Z11setupKernelPj
	.globl	_Z11setupKernelPj
	.p2align	8
	.type	_Z11setupKernelPj,@function
_Z11setupKernelPj:                      ; @_Z11setupKernelPj
; %bb.0:
	s_clause 0x1
	s_load_b32 s4, s[0:1], 0x14
	s_load_b64 s[2:3], s[0:1], 0x0
	s_wait_xcnt 0x0
	s_bfe_u32 s0, ttmp6, 0x4000c
	s_and_b32 s1, ttmp6, 15
	s_add_co_i32 s0, s0, 1
	s_getreg_b32 s5, hwreg(HW_REG_IB_STS2, 6, 4)
	s_mul_i32 s0, ttmp9, s0
	s_delay_alu instid0(SALU_CYCLE_1)
	s_add_co_i32 s1, s1, s0
	s_wait_kmcnt 0x0
	s_and_b32 s4, s4, 0xffff
	s_cmp_eq_u32 s5, 0
	s_cselect_b32 s0, ttmp9, s1
	s_mov_b32 s1, exec_lo
	v_mad_u32 v0, s0, s4, v0
	s_mov_b32 s0, 0
	global_store_b32 v0, v0, s[2:3] scale_offset
	s_wait_xcnt 0x0
	v_cmpx_lt_i32_e32 0, v0
	s_cbranch_execz .LBB0_4
; %bb.1:
	v_ashrrev_i32_e32 v1, 31, v0
	s_delay_alu instid0(VALU_DEP_1)
	v_lshl_add_u64 v[2:3], v[0:1], 2, s[2:3]
	v_mov_b32_e32 v1, v0
.LBB0_2:                                ; =>This Inner Loop Header: Depth=1
	s_delay_alu instid0(VALU_DEP_1) | instskip(SKIP_1) | instid1(VALU_DEP_1)
	v_mad_u32 v1, 0x1984a2d, v1, 1
	v_add_nc_u32_e32 v0, -1, v0
	v_cmp_eq_u32_e32 vcc_lo, 0, v0
	s_or_b32 s0, vcc_lo, s0
	s_delay_alu instid0(VALU_DEP_3)
	v_and_b32_e32 v1, 0x7fffffff, v1
	s_and_not1_b32 exec_lo, exec_lo, s0
	s_cbranch_execnz .LBB0_2
; %bb.3:
	s_or_b32 exec_lo, exec_lo, s0
	global_store_b32 v[2:3], v1, off
.LBB0_4:
	s_endpgm
	.section	.rodata,"a",@progbits
	.p2align	6, 0x0
	.amdhsa_kernel _Z11setupKernelPj
		.amdhsa_group_segment_fixed_size 0
		.amdhsa_private_segment_fixed_size 0
		.amdhsa_kernarg_size 264
		.amdhsa_user_sgpr_count 2
		.amdhsa_user_sgpr_dispatch_ptr 0
		.amdhsa_user_sgpr_queue_ptr 0
		.amdhsa_user_sgpr_kernarg_segment_ptr 1
		.amdhsa_user_sgpr_dispatch_id 0
		.amdhsa_user_sgpr_kernarg_preload_length 0
		.amdhsa_user_sgpr_kernarg_preload_offset 0
		.amdhsa_user_sgpr_private_segment_size 0
		.amdhsa_wavefront_size32 1
		.amdhsa_uses_dynamic_stack 0
		.amdhsa_enable_private_segment 0
		.amdhsa_system_sgpr_workgroup_id_x 1
		.amdhsa_system_sgpr_workgroup_id_y 0
		.amdhsa_system_sgpr_workgroup_id_z 0
		.amdhsa_system_sgpr_workgroup_info 0
		.amdhsa_system_vgpr_workitem_id 0
		.amdhsa_next_free_vgpr 4
		.amdhsa_next_free_sgpr 6
		.amdhsa_named_barrier_count 0
		.amdhsa_reserve_vcc 1
		.amdhsa_float_round_mode_32 0
		.amdhsa_float_round_mode_16_64 0
		.amdhsa_float_denorm_mode_32 3
		.amdhsa_float_denorm_mode_16_64 3
		.amdhsa_fp16_overflow 0
		.amdhsa_memory_ordered 1
		.amdhsa_forward_progress 1
		.amdhsa_inst_pref_size 2
		.amdhsa_round_robin_scheduling 0
		.amdhsa_exception_fp_ieee_invalid_op 0
		.amdhsa_exception_fp_denorm_src 0
		.amdhsa_exception_fp_ieee_div_zero 0
		.amdhsa_exception_fp_ieee_overflow 0
		.amdhsa_exception_fp_ieee_underflow 0
		.amdhsa_exception_fp_ieee_inexact 0
		.amdhsa_exception_int_div_zero 0
	.end_amdhsa_kernel
	.text
.Lfunc_end0:
	.size	_Z11setupKernelPj, .Lfunc_end0-_Z11setupKernelPj
                                        ; -- End function
	.set _Z11setupKernelPj.num_vgpr, 4
	.set _Z11setupKernelPj.num_agpr, 0
	.set _Z11setupKernelPj.numbered_sgpr, 6
	.set _Z11setupKernelPj.num_named_barrier, 0
	.set _Z11setupKernelPj.private_seg_size, 0
	.set _Z11setupKernelPj.uses_vcc, 1
	.set _Z11setupKernelPj.uses_flat_scratch, 0
	.set _Z11setupKernelPj.has_dyn_sized_stack, 0
	.set _Z11setupKernelPj.has_recursion, 0
	.set _Z11setupKernelPj.has_indirect_call, 0
	.section	.AMDGPU.csdata,"",@progbits
; Kernel info:
; codeLenInByte = 204
; TotalNumSgprs: 8
; NumVgprs: 4
; ScratchSize: 0
; MemoryBound: 0
; FloatMode: 240
; IeeeMode: 1
; LDSByteSize: 0 bytes/workgroup (compile time only)
; SGPRBlocks: 0
; VGPRBlocks: 0
; NumSGPRsForWavesPerEU: 8
; NumVGPRsForWavesPerEU: 4
; NamedBarCnt: 0
; Occupancy: 16
; WaveLimiterHint : 0
; COMPUTE_PGM_RSRC2:SCRATCH_EN: 0
; COMPUTE_PGM_RSRC2:USER_SGPR: 2
; COMPUTE_PGM_RSRC2:TRAP_HANDLER: 0
; COMPUTE_PGM_RSRC2:TGID_X_EN: 1
; COMPUTE_PGM_RSRC2:TGID_Y_EN: 0
; COMPUTE_PGM_RSRC2:TGID_Z_EN: 0
; COMPUTE_PGM_RSRC2:TIDIG_COMP_CNT: 0
	.text
	.protected	_Z6decodePKfPKiPKjPi    ; -- Begin function _Z6decodePKfPKiPKjPi
	.globl	_Z6decodePKfPKiPKjPi
	.p2align	8
	.type	_Z6decodePKfPKiPKjPi,@function
_Z6decodePKfPKiPKjPi:                   ; @_Z6decodePKfPKiPKjPi
; %bb.0:
	s_clause 0x1
	s_load_b32 s4, s[0:1], 0x2c
	s_load_b64 s[2:3], s[0:1], 0x10
	s_bfe_u32 s5, ttmp6, 0x4000c
	s_and_b32 s6, ttmp6, 15
	s_add_co_i32 s5, s5, 1
	s_getreg_b32 s7, hwreg(HW_REG_IB_STS2, 6, 4)
	s_mul_i32 s5, ttmp9, s5
	s_mov_b32 s20, exec_lo
	s_add_co_i32 s6, s6, s5
	s_wait_kmcnt 0x0
	s_and_b32 s4, s4, 0xffff
	s_cmp_eq_u32 s7, 0
	s_cselect_b32 s5, ttmp9, s6
	s_delay_alu instid0(SALU_CYCLE_1)
	v_mad_u32 v74, s5, s4, v0
	global_load_b32 v75, v74, s[2:3] scale_offset
	s_wait_xcnt 0x0
	v_cmpx_eq_u32_e32 0, v0
	s_cbranch_execz .LBB1_2
; %bb.1:
	s_load_b64 s[2:3], s[0:1], 0x0
	s_wait_kmcnt 0x0
	s_clause 0x3
	s_load_b512 s[4:19], s[2:3], 0x0
	s_load_b512 s[52:67], s[2:3], 0x40
	s_load_b512 s[68:83], s[2:3], 0x80
	s_load_b512 s[36:51], s[2:3], 0xc0
	s_wait_kmcnt 0x0
	v_dual_mov_b32 v0, 0 :: v_dual_mov_b32 v2, s4
	v_dual_mov_b32 v3, s5 :: v_dual_mov_b32 v4, s6
	;; [unrolled: 1-line block ×18, first 2 shown]
	v_mov_b32_e32 v37, s71
	ds_store_b128 v0, v[2:5]
	ds_store_b128 v0, v[6:9] offset:16
	ds_store_b128 v0, v[10:13] offset:32
	;; [unrolled: 1-line block ×3, first 2 shown]
	v_dual_mov_b32 v2, s72 :: v_dual_mov_b32 v3, s73
	v_dual_mov_b32 v4, s74 :: v_dual_mov_b32 v5, s75
	ds_store_b128 v0, v[18:21] offset:64
	ds_store_b128 v0, v[22:25] offset:80
	;; [unrolled: 1-line block ×6, first 2 shown]
	v_dual_mov_b32 v2, s76 :: v_dual_mov_b32 v3, s77
	v_dual_mov_b32 v4, s78 :: v_dual_mov_b32 v5, s79
	v_mov_b32_e32 v6, s80
	s_load_b512 s[4:19], s[2:3], 0x100
	v_dual_mov_b32 v7, s81 :: v_dual_mov_b32 v8, s82
	v_dual_mov_b32 v9, s83 :: v_dual_mov_b32 v10, s36
	;; [unrolled: 1-line block ×9, first 2 shown]
	v_mov_b32_e32 v25, s51
	ds_store_b128 v0, v[2:5] offset:160
	ds_store_b128 v0, v[6:9] offset:176
	ds_store_b128 v0, v[10:13] offset:192
	ds_store_b128 v0, v[14:17] offset:208
	ds_store_b128 v0, v[18:21] offset:224
	ds_store_b128 v0, v[22:25] offset:240
	s_load_b512 s[36:51], s[2:3], 0x140
	s_wait_kmcnt 0x0
	v_dual_mov_b32 v2, s4 :: v_dual_mov_b32 v3, s5
	v_dual_mov_b32 v4, s6 :: v_dual_mov_b32 v5, s7
	v_dual_mov_b32 v6, s8 :: v_dual_mov_b32 v7, s9
	v_dual_mov_b32 v8, s10 :: v_dual_mov_b32 v9, s11
	v_dual_mov_b32 v10, s12 :: v_dual_mov_b32 v11, s13
	v_dual_mov_b32 v12, s14 :: v_dual_mov_b32 v13, s15
	v_dual_mov_b32 v14, s16 :: v_dual_mov_b32 v15, s17
	v_dual_mov_b32 v16, s18 :: v_dual_mov_b32 v17, s19
	s_load_b512 s[4:19], s[2:3], 0x180
	ds_store_b128 v0, v[2:5] offset:256
	ds_store_b128 v0, v[6:9] offset:272
	ds_store_b128 v0, v[10:13] offset:288
	ds_store_b128 v0, v[14:17] offset:304
	v_dual_mov_b32 v2, s36 :: v_dual_mov_b32 v3, s37
	v_dual_mov_b32 v4, s38 :: v_dual_mov_b32 v5, s39
	v_dual_mov_b32 v6, s40 :: v_dual_mov_b32 v7, s41
	v_dual_mov_b32 v8, s42 :: v_dual_mov_b32 v9, s43
	v_dual_mov_b32 v10, s44 :: v_dual_mov_b32 v11, s45
	v_dual_mov_b32 v12, s46 :: v_dual_mov_b32 v13, s47
	v_dual_mov_b32 v14, s48 :: v_dual_mov_b32 v15, s49
	v_dual_mov_b32 v16, s50 :: v_dual_mov_b32 v17, s51
	s_load_b512 s[36:51], s[2:3], 0x1c0
	s_wait_kmcnt 0x0
	v_dual_mov_b32 v18, s4 :: v_dual_mov_b32 v19, s5
	v_dual_mov_b32 v20, s6 :: v_dual_mov_b32 v21, s7
	v_dual_mov_b32 v22, s8 :: v_dual_mov_b32 v23, s9
	v_dual_mov_b32 v24, s10 :: v_dual_mov_b32 v25, s11
	ds_store_b128 v0, v[2:5] offset:320
	ds_store_b128 v0, v[6:9] offset:336
	ds_store_b128 v0, v[10:13] offset:352
	ds_store_b128 v0, v[14:17] offset:368
	ds_store_b128 v0, v[18:21] offset:384
	ds_store_b128 v0, v[22:25] offset:400
	v_dual_mov_b32 v2, s12 :: v_dual_mov_b32 v3, s13
	v_dual_mov_b32 v4, s14 :: v_dual_mov_b32 v5, s15
	v_dual_mov_b32 v6, s16 :: v_dual_mov_b32 v7, s17
	v_dual_mov_b32 v8, s18 :: v_dual_mov_b32 v9, s19
	s_load_b512 s[4:19], s[2:3], 0x200
	v_dual_mov_b32 v10, s36 :: v_dual_mov_b32 v11, s37
	v_dual_mov_b32 v12, s38 :: v_dual_mov_b32 v13, s39
	v_dual_mov_b32 v14, s40 :: v_dual_mov_b32 v15, s41
	v_dual_mov_b32 v16, s42 :: v_dual_mov_b32 v17, s43
	v_dual_mov_b32 v18, s44 :: v_dual_mov_b32 v19, s45
	v_dual_mov_b32 v20, s46 :: v_dual_mov_b32 v21, s47
	v_dual_mov_b32 v22, s48 :: v_dual_mov_b32 v23, s49
	v_dual_mov_b32 v24, s50 :: v_dual_mov_b32 v25, s51
	ds_store_b128 v0, v[2:5] offset:416
	ds_store_b128 v0, v[6:9] offset:432
	ds_store_b128 v0, v[10:13] offset:448
	ds_store_b128 v0, v[14:17] offset:464
	ds_store_b128 v0, v[18:21] offset:480
	ds_store_b128 v0, v[22:25] offset:496
	s_load_b512 s[36:51], s[2:3], 0x240
	s_wait_kmcnt 0x0
	v_dual_mov_b32 v2, s4 :: v_dual_mov_b32 v3, s5
	v_dual_mov_b32 v4, s6 :: v_dual_mov_b32 v5, s7
	v_dual_mov_b32 v6, s8 :: v_dual_mov_b32 v7, s9
	v_dual_mov_b32 v8, s10 :: v_dual_mov_b32 v9, s11
	v_dual_mov_b32 v10, s12 :: v_dual_mov_b32 v11, s13
	v_dual_mov_b32 v12, s14 :: v_dual_mov_b32 v13, s15
	v_dual_mov_b32 v14, s16 :: v_dual_mov_b32 v15, s17
	v_dual_mov_b32 v16, s18 :: v_dual_mov_b32 v17, s19
	s_load_b512 s[4:19], s[2:3], 0x280
	ds_store_b128 v0, v[2:5] offset:512
	ds_store_b128 v0, v[6:9] offset:528
	ds_store_b128 v0, v[10:13] offset:544
	ds_store_b128 v0, v[14:17] offset:560
	v_dual_mov_b32 v2, s36 :: v_dual_mov_b32 v3, s37
	v_dual_mov_b32 v4, s38 :: v_dual_mov_b32 v5, s39
	v_dual_mov_b32 v6, s40 :: v_dual_mov_b32 v7, s41
	v_dual_mov_b32 v8, s42 :: v_dual_mov_b32 v9, s43
	v_dual_mov_b32 v10, s44 :: v_dual_mov_b32 v11, s45
	v_dual_mov_b32 v12, s46 :: v_dual_mov_b32 v13, s47
	v_dual_mov_b32 v14, s48 :: v_dual_mov_b32 v15, s49
	v_dual_mov_b32 v16, s50 :: v_dual_mov_b32 v17, s51
	s_load_b512 s[36:51], s[2:3], 0x2c0
	s_wait_kmcnt 0x0
	v_dual_mov_b32 v18, s4 :: v_dual_mov_b32 v19, s5
	v_dual_mov_b32 v20, s6 :: v_dual_mov_b32 v21, s7
	v_dual_mov_b32 v22, s8 :: v_dual_mov_b32 v23, s9
	v_dual_mov_b32 v24, s10 :: v_dual_mov_b32 v25, s11
	ds_store_b128 v0, v[2:5] offset:576
	ds_store_b128 v0, v[6:9] offset:592
	ds_store_b128 v0, v[10:13] offset:608
	ds_store_b128 v0, v[14:17] offset:624
	ds_store_b128 v0, v[18:21] offset:640
	ds_store_b128 v0, v[22:25] offset:656
	v_dual_mov_b32 v2, s12 :: v_dual_mov_b32 v3, s13
	v_dual_mov_b32 v4, s14 :: v_dual_mov_b32 v5, s15
	v_dual_mov_b32 v6, s16 :: v_dual_mov_b32 v7, s17
	v_dual_mov_b32 v8, s18 :: v_dual_mov_b32 v9, s19
	s_load_b512 s[4:19], s[2:3], 0x300
	v_dual_mov_b32 v10, s36 :: v_dual_mov_b32 v11, s37
	v_dual_mov_b32 v12, s38 :: v_dual_mov_b32 v13, s39
	v_dual_mov_b32 v14, s40 :: v_dual_mov_b32 v15, s41
	v_dual_mov_b32 v16, s42 :: v_dual_mov_b32 v17, s43
	v_dual_mov_b32 v18, s44 :: v_dual_mov_b32 v19, s45
	v_dual_mov_b32 v20, s46 :: v_dual_mov_b32 v21, s47
	v_dual_mov_b32 v22, s48 :: v_dual_mov_b32 v23, s49
	v_dual_mov_b32 v24, s50 :: v_dual_mov_b32 v25, s51
	;; [unrolled: 54-line block ×8, first 2 shown]
	ds_store_b128 v0, v[2:5] offset:2208
	ds_store_b128 v0, v[6:9] offset:2224
	;; [unrolled: 1-line block ×6, first 2 shown]
	s_load_b512 s[36:51], s[2:3], 0x940
	s_wait_kmcnt 0x0
	v_dual_mov_b32 v2, s4 :: v_dual_mov_b32 v3, s5
	v_dual_mov_b32 v4, s6 :: v_dual_mov_b32 v5, s7
	;; [unrolled: 1-line block ×8, first 2 shown]
	s_load_b512 s[4:19], s[2:3], 0x980
	ds_store_b128 v0, v[2:5] offset:2304
	ds_store_b128 v0, v[6:9] offset:2320
	;; [unrolled: 1-line block ×4, first 2 shown]
	s_load_b512 s[52:67], s[2:3], 0x9c0
	v_dual_mov_b32 v2, s36 :: v_dual_mov_b32 v3, s37
	v_dual_mov_b32 v4, s38 :: v_dual_mov_b32 v5, s39
	;; [unrolled: 1-line block ×8, first 2 shown]
	s_wait_kmcnt 0x0
	v_dual_mov_b32 v18, s4 :: v_dual_mov_b32 v19, s5
	v_dual_mov_b32 v20, s6 :: v_dual_mov_b32 v21, s7
	;; [unrolled: 1-line block ×4, first 2 shown]
	ds_store_b128 v0, v[2:5] offset:2368
	ds_store_b128 v0, v[6:9] offset:2384
	ds_store_b128 v0, v[10:13] offset:2400
	ds_store_b128 v0, v[14:17] offset:2416
	ds_store_b128 v0, v[18:21] offset:2432
	ds_store_b128 v0, v[22:25] offset:2448
	v_dual_mov_b32 v2, s12 :: v_dual_mov_b32 v3, s13
	v_dual_mov_b32 v4, s14 :: v_dual_mov_b32 v5, s15
	;; [unrolled: 1-line block ×4, first 2 shown]
	v_mov_b32_e32 v10, s52
	s_load_b512 s[36:51], s[2:3], 0xa00
	v_dual_mov_b32 v11, s53 :: v_dual_mov_b32 v12, s54
	v_dual_mov_b32 v13, s55 :: v_dual_mov_b32 v14, s56
	;; [unrolled: 1-line block ×7, first 2 shown]
	v_mov_b32_e32 v25, s67
	ds_store_b128 v0, v[2:5] offset:2464
	ds_store_b128 v0, v[6:9] offset:2480
	;; [unrolled: 1-line block ×6, first 2 shown]
	s_clause 0x1
	s_load_b512 s[4:19], s[2:3], 0xa40
	s_load_b128 s[24:27], s[2:3], 0xa80
	s_wait_kmcnt 0x0
	v_dual_mov_b32 v2, s36 :: v_dual_mov_b32 v3, s37
	v_dual_mov_b32 v4, s38 :: v_dual_mov_b32 v5, s39
	;; [unrolled: 1-line block ×8, first 2 shown]
	ds_store_b128 v0, v[2:5] offset:2560
	ds_store_b128 v0, v[6:9] offset:2576
	;; [unrolled: 1-line block ×4, first 2 shown]
	v_dual_mov_b32 v2, s4 :: v_dual_mov_b32 v3, s5
	v_dual_mov_b32 v4, s6 :: v_dual_mov_b32 v5, s7
	;; [unrolled: 1-line block ×4, first 2 shown]
	v_mov_b32_e32 v10, s12
	v_mov_b64_e32 v[18:19], s[24:25]
	v_dual_mov_b32 v11, s13 :: v_dual_mov_b32 v12, s14
	v_dual_mov_b32 v13, s15 :: v_dual_mov_b32 v14, s16
	v_mov_b64_e32 v[20:21], s[26:27]
	v_dual_mov_b32 v15, s17 :: v_dual_mov_b32 v16, s18
	v_mov_b32_e32 v17, s19
	ds_store_b128 v0, v[2:5] offset:2624
	ds_store_b128 v0, v[6:9] offset:2640
	;; [unrolled: 1-line block ×5, first 2 shown]
.LBB1_2:
	s_or_b32 exec_lo, exec_lo, s20
	s_clause 0x1
	s_load_b64 s[66:67], s[0:1], 0x8
	s_load_b64 s[64:65], s[0:1], 0x18
	v_dual_mov_b32 v0, 0 :: v_dual_mov_b32 v1, 1
	v_dual_mov_b32 v2, 2 :: v_dual_mov_b32 v3, 3
	;; [unrolled: 1-line block ×15, first 2 shown]
	s_mov_b64 s[28:29], 0
	s_wait_loadcnt_dscnt 0x0
	s_barrier_signal -1
	s_barrier_wait -1
	s_branch .LBB1_4
.LBB1_3:                                ;   in Loop: Header=BB1_4 Depth=1
	s_or_b32 exec_lo, exec_lo, s29
	s_add_nc_u64 s[28:29], s[30:31], 1
	s_delay_alu instid0(SALU_CYCLE_1)
	s_cmp_eq_u32 s28, 30
	s_cbranch_scc1 .LBB1_10
.LBB1_4:                                ; =>This Inner Loop Header: Depth=1
	v_mad_u32 v32, 0x1984a2d, v75, 1
	s_mov_b32 s30, exec_lo
	s_delay_alu instid0(VALU_DEP_1) | instskip(NEXT) | instid1(VALU_DEP_1)
	v_and_b32_e32 v33, 0x7fffffff, v32
	v_cvt_f32_u32_e32 v33, v33
	s_delay_alu instid0(VALU_DEP_1) | instskip(NEXT) | instid1(VALU_DEP_1)
	v_mul_f32_e32 v33, 0x30000000, v33
	v_mul_f32_e32 v33, 0x41f00000, v33
	s_delay_alu instid0(VALU_DEP_1) | instskip(NEXT) | instid1(VALU_DEP_1)
	v_cvt_i32_f32_e32 v33, v33
	v_cmpx_ne_u32_e64 s28, v33
	s_cbranch_execz .LBB1_6
; %bb.5:                                ;   in Loop: Header=BB1_4 Depth=1
	v_cmp_eq_u32_e32 vcc_lo, 1, v33
	s_wait_xcnt 0x0
	v_cmp_eq_u32_e64 s0, 2, v33
	v_cmp_eq_u32_e64 s1, 3, v33
	;; [unrolled: 1-line block ×4, first 2 shown]
	v_cndmask_b32_e32 v34, v0, v1, vcc_lo
	v_cmp_eq_u32_e64 s3, 5, v33
	v_cmp_eq_u32_e64 s26, 28, v33
	v_cmp_eq_u32_e64 s4, 6, v33
	v_cmp_eq_u32_e64 s25, 27, v33
	v_cndmask_b32_e64 v34, v34, v2, s0
	v_cmp_eq_u32_e64 s5, 7, v33
	v_cmp_eq_u32_e64 s6, 8, v33
	v_cmp_eq_u32_e64 s23, 25, v33
	v_cmp_eq_u32_e64 s7, 9, v33
	v_cndmask_b32_e64 v34, v34, v3, s1
	;; [unrolled: 5-line block ×6, first 2 shown]
	s_mov_b32 m0, s28
	v_movrels_b32_e32 v35, v0
	s_delay_alu instid0(VALU_DEP_2) | instskip(NEXT) | instid1(VALU_DEP_1)
	v_cndmask_b32_e64 v34, v34, v8, s6
	v_cndmask_b32_e64 v34, v34, v9, s7
	s_delay_alu instid0(VALU_DEP_1) | instskip(NEXT) | instid1(VALU_DEP_1)
	v_cndmask_b32_e64 v34, v34, v10, s8
	v_cndmask_b32_e64 v34, v34, v11, s9
	s_delay_alu instid0(VALU_DEP_1) | instskip(NEXT) | instid1(VALU_DEP_1)
	;; [unrolled: 3-line block ×11, first 2 shown]
	v_sub_nc_u32_e32 v34, v35, v34
	v_movreld_b32_e32 v0, v34
	v_cndmask_b32_e32 v30, v0, v1, vcc_lo
	s_delay_alu instid0(VALU_DEP_1) | instskip(NEXT) | instid1(VALU_DEP_1)
	v_cndmask_b32_e64 v30, v30, v2, s0
	v_cndmask_b32_e64 v30, v30, v3, s1
	s_delay_alu instid0(VALU_DEP_1) | instskip(NEXT) | instid1(VALU_DEP_1)
	v_cndmask_b32_e64 v30, v30, v4, s2
	v_cndmask_b32_e64 v30, v30, v5, s3
	;; [unrolled: 3-line block ×14, first 2 shown]
	s_delay_alu instid0(VALU_DEP_1) | instskip(NEXT) | instid1(VALU_DEP_1)
	v_add_nc_u32_e32 v30, v30, v34
	v_dual_cndmask_b32 v26, v26, v30, s24 :: v_dual_cndmask_b32 v1, v1, v30, vcc_lo
	v_cmp_eq_u32_e32 vcc_lo, 0, v33
	v_dual_cndmask_b32 v22, v22, v30, s20 :: v_dual_cndmask_b32 v29, v29, v30, s27
	v_dual_cndmask_b32 v28, v28, v30, s26 :: v_dual_cndmask_b32 v27, v27, v30, s25
	v_dual_cndmask_b32 v0, v0, v30, vcc_lo :: v_dual_cndmask_b32 v25, v25, v30, s23
	v_dual_cndmask_b32 v24, v24, v30, s22 :: v_dual_cndmask_b32 v23, v23, v30, s21
	v_dual_cndmask_b32 v21, v21, v30, s19 :: v_dual_cndmask_b32 v20, v20, v30, s18
	;; [unrolled: 1-line block ×11, first 2 shown]
	v_movrels_b32_e32 v31, v0
	s_delay_alu instid0(VALU_DEP_1) | instskip(NEXT) | instid1(VALU_DEP_1)
	v_sub_nc_u32_e32 v30, v30, v31
	v_movreld_b32_e32 v0, v30
.LBB1_6:                                ;   in Loop: Header=BB1_4 Depth=1
	s_or_b32 exec_lo, exec_lo, s30
	v_mad_u32 v32, 0x1984a2d, v32, 1
	s_add_nc_u64 s[30:31], s[28:29], 1
	s_mov_b32 s29, exec_lo
	s_delay_alu instid0(VALU_DEP_1) | instskip(NEXT) | instid1(VALU_DEP_1)
	v_and_b32_e32 v33, 0x7fffffff, v32
	v_cvt_f32_u32_e32 v33, v33
	s_delay_alu instid0(VALU_DEP_1) | instskip(NEXT) | instid1(VALU_DEP_1)
	v_mul_f32_e32 v33, 0x30000000, v33
	v_mul_f32_e32 v33, 0x41f00000, v33
	s_delay_alu instid0(VALU_DEP_1) | instskip(NEXT) | instid1(VALU_DEP_1)
	v_cvt_i32_f32_e32 v33, v33
	v_cmpx_ne_u32_e64 s30, v33
	s_cbranch_execz .LBB1_8
; %bb.7:                                ;   in Loop: Header=BB1_4 Depth=1
	v_cmp_eq_u32_e32 vcc_lo, 1, v33
	s_wait_xcnt 0x0
	v_cmp_eq_u32_e64 s0, 2, v33
	v_cmp_eq_u32_e64 s1, 3, v33
	v_cmp_eq_u32_e64 s2, 4, v33
	v_cmp_eq_u32_e64 s27, 29, v33
	v_cndmask_b32_e32 v34, v0, v1, vcc_lo
	v_cmp_eq_u32_e64 s3, 5, v33
	v_cmp_eq_u32_e64 s26, 28, v33
	v_cmp_eq_u32_e64 s4, 6, v33
	v_cmp_eq_u32_e64 s25, 27, v33
	v_cndmask_b32_e64 v34, v34, v2, s0
	v_cmp_eq_u32_e64 s5, 7, v33
	v_cmp_eq_u32_e64 s6, 8, v33
	v_cmp_eq_u32_e64 s23, 25, v33
	v_cmp_eq_u32_e64 s7, 9, v33
	v_cndmask_b32_e64 v34, v34, v3, s1
	;; [unrolled: 5-line block ×6, first 2 shown]
	s_mov_b32 m0, s30
	v_movrels_b32_e32 v35, v0
	s_delay_alu instid0(VALU_DEP_2) | instskip(NEXT) | instid1(VALU_DEP_1)
	v_cndmask_b32_e64 v34, v34, v8, s6
	v_cndmask_b32_e64 v34, v34, v9, s7
	s_delay_alu instid0(VALU_DEP_1) | instskip(NEXT) | instid1(VALU_DEP_1)
	v_cndmask_b32_e64 v34, v34, v10, s8
	v_cndmask_b32_e64 v34, v34, v11, s9
	s_delay_alu instid0(VALU_DEP_1) | instskip(NEXT) | instid1(VALU_DEP_1)
	;; [unrolled: 3-line block ×11, first 2 shown]
	v_sub_nc_u32_e32 v34, v35, v34
	v_movreld_b32_e32 v0, v34
	v_cndmask_b32_e32 v30, v0, v1, vcc_lo
	s_delay_alu instid0(VALU_DEP_1) | instskip(NEXT) | instid1(VALU_DEP_1)
	v_cndmask_b32_e64 v30, v30, v2, s0
	v_cndmask_b32_e64 v30, v30, v3, s1
	s_delay_alu instid0(VALU_DEP_1) | instskip(NEXT) | instid1(VALU_DEP_1)
	v_cndmask_b32_e64 v30, v30, v4, s2
	v_cndmask_b32_e64 v30, v30, v5, s3
	;; [unrolled: 3-line block ×14, first 2 shown]
	s_delay_alu instid0(VALU_DEP_1) | instskip(NEXT) | instid1(VALU_DEP_1)
	v_add_nc_u32_e32 v30, v30, v34
	v_dual_cndmask_b32 v26, v26, v30, s24 :: v_dual_cndmask_b32 v1, v1, v30, vcc_lo
	v_cmp_eq_u32_e32 vcc_lo, 0, v33
	v_dual_cndmask_b32 v22, v22, v30, s20 :: v_dual_cndmask_b32 v29, v29, v30, s27
	v_dual_cndmask_b32 v28, v28, v30, s26 :: v_dual_cndmask_b32 v27, v27, v30, s25
	v_dual_cndmask_b32 v0, v0, v30, vcc_lo :: v_dual_cndmask_b32 v25, v25, v30, s23
	v_dual_cndmask_b32 v24, v24, v30, s22 :: v_dual_cndmask_b32 v23, v23, v30, s21
	v_dual_cndmask_b32 v21, v21, v30, s19 :: v_dual_cndmask_b32 v20, v20, v30, s18
	;; [unrolled: 1-line block ×11, first 2 shown]
	v_movrels_b32_e32 v31, v0
	s_delay_alu instid0(VALU_DEP_1) | instskip(NEXT) | instid1(VALU_DEP_1)
	v_sub_nc_u32_e32 v30, v30, v31
	v_movreld_b32_e32 v0, v30
.LBB1_8:                                ;   in Loop: Header=BB1_4 Depth=1
	s_or_b32 exec_lo, exec_lo, s29
	v_mad_u32 v32, 0x1984a2d, v32, 1
	s_add_nc_u64 s[30:31], s[30:31], 1
	s_mov_b32 s29, exec_lo
	s_delay_alu instid0(VALU_DEP_1) | instskip(NEXT) | instid1(VALU_DEP_1)
	v_and_b32_e32 v75, 0x7fffffff, v32
	v_cvt_f32_u32_e32 v32, v75
	s_delay_alu instid0(VALU_DEP_1) | instskip(NEXT) | instid1(VALU_DEP_1)
	v_mul_f32_e32 v32, 0x30000000, v32
	v_mul_f32_e32 v32, 0x41f00000, v32
	s_delay_alu instid0(VALU_DEP_1) | instskip(NEXT) | instid1(VALU_DEP_1)
	v_cvt_i32_f32_e32 v32, v32
	v_cmpx_ne_u32_e64 s30, v32
	s_cbranch_execz .LBB1_3
; %bb.9:                                ;   in Loop: Header=BB1_4 Depth=1
	v_cmp_eq_u32_e32 vcc_lo, 1, v32
	s_wait_xcnt 0x0
	v_cmp_eq_u32_e64 s0, 2, v32
	v_cmp_eq_u32_e64 s1, 3, v32
	;; [unrolled: 1-line block ×4, first 2 shown]
	v_cndmask_b32_e32 v33, v0, v1, vcc_lo
	v_cmp_eq_u32_e64 s4, 6, v32
	v_cmp_eq_u32_e64 s5, 7, v32
	v_cmp_eq_u32_e64 s6, 8, v32
	v_cmp_eq_u32_e64 s7, 9, v32
	v_cndmask_b32_e64 v33, v33, v2, s0
	v_cmp_eq_u32_e64 s8, 10, v32
	v_cmp_eq_u32_e64 s9, 11, v32
	v_cmp_eq_u32_e64 s10, 12, v32
	v_cmp_eq_u32_e64 s11, 13, v32
	v_cndmask_b32_e64 v33, v33, v3, s1
	;; [unrolled: 5-line block ×6, first 2 shown]
	s_add_co_i32 m0, s28, 2
	v_movrels_b32_e32 v34, v0
	s_delay_alu instid0(VALU_DEP_2) | instskip(NEXT) | instid1(VALU_DEP_1)
	v_cndmask_b32_e64 v33, v33, v8, s6
	v_cndmask_b32_e64 v33, v33, v9, s7
	s_delay_alu instid0(VALU_DEP_1) | instskip(NEXT) | instid1(VALU_DEP_1)
	v_cndmask_b32_e64 v33, v33, v10, s8
	v_cndmask_b32_e64 v33, v33, v11, s9
	s_delay_alu instid0(VALU_DEP_1) | instskip(NEXT) | instid1(VALU_DEP_1)
	;; [unrolled: 3-line block ×11, first 2 shown]
	v_sub_nc_u32_e32 v33, v34, v33
	v_movreld_b32_e32 v0, v33
	v_cndmask_b32_e32 v30, v0, v1, vcc_lo
	s_delay_alu instid0(VALU_DEP_1) | instskip(NEXT) | instid1(VALU_DEP_1)
	v_cndmask_b32_e64 v30, v30, v2, s0
	v_cndmask_b32_e64 v30, v30, v3, s1
	s_delay_alu instid0(VALU_DEP_1) | instskip(NEXT) | instid1(VALU_DEP_1)
	v_cndmask_b32_e64 v30, v30, v4, s2
	v_cndmask_b32_e64 v30, v30, v5, s3
	;; [unrolled: 3-line block ×14, first 2 shown]
	s_delay_alu instid0(VALU_DEP_1) | instskip(NEXT) | instid1(VALU_DEP_1)
	v_add_nc_u32_e32 v30, v30, v33
	v_dual_cndmask_b32 v2, v2, v30, s0 :: v_dual_cndmask_b32 v1, v1, v30, vcc_lo
	v_cmp_eq_u32_e32 vcc_lo, 0, v32
	v_dual_cndmask_b32 v29, v29, v30, s27 :: v_dual_cndmask_b32 v28, v28, v30, s26
	v_dual_cndmask_b32 v27, v27, v30, s25 :: v_dual_cndmask_b32 v26, v26, v30, s24
	v_dual_cndmask_b32 v25, v25, v30, s23 :: v_dual_cndmask_b32 v0, v0, v30, vcc_lo
	v_dual_cndmask_b32 v24, v24, v30, s22 :: v_dual_cndmask_b32 v23, v23, v30, s21
	v_dual_cndmask_b32 v22, v22, v30, s20 :: v_dual_cndmask_b32 v21, v21, v30, s19
	;; [unrolled: 1-line block ×11, first 2 shown]
	v_movrels_b32_e32 v31, v0
	s_delay_alu instid0(VALU_DEP_1) | instskip(NEXT) | instid1(VALU_DEP_1)
	v_sub_nc_u32_e32 v30, v30, v31
	v_movreld_b32_e32 v0, v30
	s_branch .LBB1_3
.LBB1_10:
	v_mov_b64_e32 v[72:73], 0xd0000000d
	v_dual_mov_b32 v77, 0x497423f0 :: v_dual_mov_b32 v64, 14
	v_dual_mov_b32 v71, 0 :: v_dual_mov_b32 v76, 13
	s_mov_b32 s60, 13
	s_mov_b32 s59, 0
	s_brev_b32 s68, 12
	s_mov_b32 s69, 0x84ee0be9
	s_mov_b32 s71, 0x28a171f5
	s_mov_b32 s70, 0x41f00000
	s_mov_b32 s61, s60
	s_mov_b32 s62, s60
	s_mov_b32 s63, s60
	s_branch .LBB1_12
.LBB1_11:                               ;   in Loop: Header=BB1_12 Depth=1
	s_wait_xcnt 0x0
	s_or_b32 exec_lo, exec_lo, s0
	s_add_co_i32 s59, s59, 1
	s_delay_alu instid0(SALU_CYCLE_1)
	s_cmp_eq_u32 s59, 0x249f0
	s_cbranch_scc1 .LBB1_60
.LBB1_12:                               ; =>This Loop Header: Depth=1
                                        ;     Child Loop BB1_16 Depth 2
                                        ;     Child Loop BB1_24 Depth 2
                                        ;       Child Loop BB1_27 Depth 3
                                        ;     Child Loop BB1_36 Depth 2
                                        ;     Child Loop BB1_42 Depth 2
                                        ;       Child Loop BB1_45 Depth 3
                                        ;       Child Loop BB1_49 Depth 3
                                        ;     Child Loop BB1_52 Depth 2
                                        ;     Child Loop BB1_55 Depth 2
	;; [unrolled: 1-line block ×3, first 2 shown]
	v_mad_u32 v66, 0x1984a2d, v75, 1
                                        ; implicit-def: $vgpr75
	s_wait_xcnt 0x0
	s_mov_b32 s0, exec_lo
	s_delay_alu instid0(VALU_DEP_1) | instskip(NEXT) | instid1(VALU_DEP_1)
	v_and_b32_e32 v65, 0x7fffffff, v66
	v_cvt_f32_u32_e32 v32, v65
	s_delay_alu instid0(VALU_DEP_1) | instskip(NEXT) | instid1(VALU_DEP_1)
	v_mul_f32_e32 v32, 0x30000000, v32
	v_mul_f32_e32 v32, 0x42c80000, v32
	s_delay_alu instid0(VALU_DEP_1) | instskip(NEXT) | instid1(VALU_DEP_1)
	v_cvt_i32_f32_e32 v67, v32
                                        ; implicit-def: $vgpr32_vgpr33_vgpr34_vgpr35_vgpr36_vgpr37_vgpr38_vgpr39_vgpr40_vgpr41_vgpr42_vgpr43_vgpr44_vgpr45_vgpr46_vgpr47_vgpr48_vgpr49_vgpr50_vgpr51_vgpr52_vgpr53_vgpr54_vgpr55_vgpr56_vgpr57_vgpr58_vgpr59_vgpr60_vgpr61_vgpr62_vgpr63
	v_cmpx_lt_i32_e32 49, v67
	s_xor_b32 s72, exec_lo, s0
	s_cbranch_execz .LBB1_32
; %bb.13:                               ;   in Loop: Header=BB1_12 Depth=1
                                        ; implicit-def: $vgpr32_vgpr33_vgpr34_vgpr35_vgpr36_vgpr37_vgpr38_vgpr39_vgpr40_vgpr41_vgpr42_vgpr43_vgpr44_vgpr45_vgpr46_vgpr47_vgpr48_vgpr49_vgpr50_vgpr51_vgpr52_vgpr53_vgpr54_vgpr55_vgpr56_vgpr57_vgpr58_vgpr59_vgpr60_vgpr61_vgpr62_vgpr63
                                        ; implicit-def: $vgpr75
	s_mov_b32 s0, exec_lo
	v_cmpx_lt_u32_e32 0x45, v67
	s_xor_b32 s30, exec_lo, s0
	s_cbranch_execz .LBB1_19
; %bb.14:                               ;   in Loop: Header=BB1_12 Depth=1
	v_mad_u32 v32, v66, s69, 0x1984a2e
	v_mad_u32 v33, v66, s71, 0x86865617
	s_mov_b32 s31, exec_lo
	s_clause 0x7
	scratch_store_b128 off, v[0:3], off offset:5008
	scratch_store_b128 off, v[4:7], off offset:5024
	scratch_store_b128 off, v[8:11], off offset:5040
	scratch_store_b128 off, v[12:15], off offset:5056
	scratch_store_b128 off, v[16:19], off offset:5072
	scratch_store_b128 off, v[20:23], off offset:5088
	scratch_store_b128 off, v[24:27], off offset:5104
	scratch_store_b64 off, v[28:29], off offset:5120
	v_and_b32_e32 v32, 0x7fffffff, v32
	v_and_b32_e32 v75, 0x7fffffff, v33
	s_delay_alu instid0(VALU_DEP_2) | instskip(NEXT) | instid1(VALU_DEP_1)
	v_cvt_f32_u32_e32 v32, v32
	v_mul_f32_e32 v32, 0x30000000, v32
	s_delay_alu instid0(VALU_DEP_1) | instskip(NEXT) | instid1(VALU_DEP_1)
	v_mul_f32_e32 v32, 0x41e80000, v32
	v_cvt_i32_f32_e32 v65, v32
	v_cvt_f32_u32_e32 v32, v75
	s_delay_alu instid0(VALU_DEP_1) | instskip(NEXT) | instid1(VALU_DEP_1)
	v_dual_mul_f32 v32, 0x30000000, v32 :: v_dual_add_nc_u32 v33, 1, v65
	v_cvt_f32_i32_e32 v33, v33
	s_delay_alu instid0(VALU_DEP_1) | instskip(NEXT) | instid1(VALU_DEP_1)
	v_fmac_f32_e32 v33, 0x41e00000, v32
	v_cvt_i32_f32_e32 v32, v33
	s_delay_alu instid0(VALU_DEP_1) | instskip(NEXT) | instid1(VALU_DEP_1)
	v_mul_hi_i32 v33, 0x88888889, v32
	v_add_nc_u32_e32 v33, v33, v32
	s_delay_alu instid0(VALU_DEP_1) | instskip(NEXT) | instid1(VALU_DEP_1)
	v_dual_lshrrev_b32 v34, 31, v33 :: v_dual_ashrrev_i32 v33, 4, v33
	v_add_nc_u32_e32 v33, v33, v34
	v_mad_u32 v34, 0x1984a2d, v66, 1
	s_delay_alu instid0(VALU_DEP_2) | instskip(NEXT) | instid1(VALU_DEP_2)
	v_mul_lo_u32 v33, v33, 30
	v_and_b32_e32 v34, 0x7fffffff, v34
	s_delay_alu instid0(VALU_DEP_2) | instskip(NEXT) | instid1(VALU_DEP_2)
	v_sub_nc_u32_e32 v32, v32, v33
	v_cvt_f32_u32_e32 v34, v34
	s_delay_alu instid0(VALU_DEP_2) | instskip(NEXT) | instid1(VALU_DEP_2)
	v_sub_nc_u32_e32 v32, v32, v65
	v_mul_f32_e32 v34, 0x30000000, v34
	s_delay_alu instid0(VALU_DEP_2) | instskip(NEXT) | instid1(VALU_DEP_2)
	v_add_nc_u32_e32 v32, 30, v32
	v_fma_f32 v34, 0x41e00000, v34, 1.0
	s_delay_alu instid0(VALU_DEP_2) | instskip(NEXT) | instid1(VALU_DEP_2)
	v_mul_hi_i32 v33, 0x88888889, v32
	v_cvt_i32_f32_e32 v34, v34
	s_delay_alu instid0(VALU_DEP_2) | instskip(NEXT) | instid1(VALU_DEP_1)
	v_add_nc_u32_e32 v33, v33, v32
	v_dual_lshrrev_b32 v35, 31, v33 :: v_dual_ashrrev_i32 v33, 4, v33
	s_delay_alu instid0(VALU_DEP_1) | instskip(NEXT) | instid1(VALU_DEP_1)
	v_add_nc_u32_e32 v33, v33, v35
	v_mul_lo_u32 v33, v33, 30
	s_delay_alu instid0(VALU_DEP_1) | instskip(NEXT) | instid1(VALU_DEP_1)
	v_sub_nc_u32_e32 v68, v32, v33
	v_add_nc_u32_e32 v32, v68, v34
	s_delay_alu instid0(VALU_DEP_1) | instskip(NEXT) | instid1(VALU_DEP_1)
	v_mul_hi_i32 v33, 0x88888889, v32
	v_add_nc_u32_e32 v33, v33, v32
	s_delay_alu instid0(VALU_DEP_1) | instskip(NEXT) | instid1(VALU_DEP_1)
	v_dual_lshrrev_b32 v34, 31, v33 :: v_dual_ashrrev_i32 v33, 4, v33
	v_add_nc_u32_e32 v33, v33, v34
	s_delay_alu instid0(VALU_DEP_1) | instskip(NEXT) | instid1(VALU_DEP_1)
	v_mul_lo_u32 v33, v33, 30
	v_sub_nc_u32_e32 v69, v32, v33
	v_mov_b64_e32 v[62:63], v[30:31]
	v_mov_b64_e32 v[60:61], v[28:29]
	;; [unrolled: 1-line block ×16, first 2 shown]
	s_wait_xcnt 0x0
	v_cmpx_lt_i32_e32 0, v69
	s_cbranch_execz .LBB1_18
; %bb.15:                               ;   in Loop: Header=BB1_12 Depth=1
	v_sub_nc_u32_e32 v32, 0, v69
	s_mov_b32 s33, 0
	s_delay_alu instid0(VALU_DEP_1) | instskip(NEXT) | instid1(VALU_DEP_1)
	v_dual_mov_b32 v67, v71 :: v_dual_max_i32 v78, v69, v32
	v_cvt_f32_u32_e32 v32, v78
	v_sub_nc_u32_e32 v33, 0, v78
	s_delay_alu instid0(VALU_DEP_2) | instskip(SKIP_1) | instid1(TRANS32_DEP_1)
	v_rcp_iflag_f32_e32 v32, v32
	v_nop
	v_mul_f32_e32 v32, 0x4f7ffffe, v32
	s_delay_alu instid0(VALU_DEP_1) | instskip(NEXT) | instid1(VALU_DEP_1)
	v_cvt_u32_f32_e32 v66, v32
	v_mul_lo_u32 v32, v33, v66
	s_delay_alu instid0(VALU_DEP_1)
	v_mul_hi_u32 v70, v66, v32
	v_mov_b64_e32 v[62:63], v[30:31]
	v_mov_b64_e32 v[60:61], v[28:29]
	;; [unrolled: 1-line block ×16, first 2 shown]
	v_dual_add_nc_u32 v66, v66, v70 :: v_dual_mov_b32 v62, v65
.LBB1_16:                               ;   Parent Loop BB1_12 Depth=1
                                        ; =>  This Inner Loop Header: Depth=2
	s_delay_alu instid0(VALU_DEP_1) | instskip(SKIP_1) | instid1(VALU_DEP_1)
	v_mul_hi_i32 v63, 0x88888889, v62
	v_dual_ashrrev_i32 v79, 31, v68 :: v_dual_add_nc_u32 v69, -1, v69
	v_cmp_eq_u32_e32 vcc_lo, 0, v69
	s_delay_alu instid0(VALU_DEP_3) | instskip(SKIP_1) | instid1(VALU_DEP_1)
	v_add_nc_u32_e32 v63, v63, v62
	s_or_b32 s33, vcc_lo, s33
	v_dual_lshrrev_b32 v70, 31, v63 :: v_dual_ashrrev_i32 v63, 4, v63
	s_delay_alu instid0(VALU_DEP_1) | instskip(NEXT) | instid1(VALU_DEP_1)
	v_dual_add_nc_u32 v63, v63, v70 :: v_dual_sub_nc_u32 v70, 0, v68
	v_mul_lo_u32 v63, v63, 30
	s_delay_alu instid0(VALU_DEP_2) | instskip(NEXT) | instid1(VALU_DEP_1)
	v_dual_add_nc_u32 v68, 1, v68 :: v_dual_max_i32 v70, v68, v70
	v_mul_u64_e32 v[80:81], v[70:71], v[66:67]
	s_delay_alu instid0(VALU_DEP_3) | instskip(SKIP_2) | instid1(VALU_DEP_1)
	v_sub_nc_u32_e32 v63, v62, v63
	scratch_load_b32 v63, v63, off offset:5008 scale_offset
	v_mul_lo_u32 v80, v81, v78
	v_dual_add_nc_u32 v62, 1, v62 :: v_dual_sub_nc_u32 v70, v70, v80
	s_delay_alu instid0(VALU_DEP_1) | instskip(SKIP_1) | instid1(VALU_DEP_1)
	v_sub_nc_u32_e32 v80, v70, v78
	v_cmp_ge_u32_e64 s0, v70, v78
	v_cndmask_b32_e64 v70, v70, v80, s0
	s_delay_alu instid0(VALU_DEP_1) | instskip(SKIP_1) | instid1(VALU_DEP_1)
	v_sub_nc_u32_e32 v80, v70, v78
	v_cmp_ge_u32_e64 s0, v70, v78
	v_cndmask_b32_e64 v70, v70, v80, s0
	s_delay_alu instid0(VALU_DEP_1) | instskip(NEXT) | instid1(VALU_DEP_1)
	v_xor_b32_e32 v70, v70, v79
	v_sub_nc_u32_e32 v70, v70, v79
	s_delay_alu instid0(VALU_DEP_1) | instskip(NEXT) | instid1(VALU_DEP_1)
	v_add_nc_u32_e32 v70, v70, v65
	v_mul_hi_i32 v79, 0x88888889, v70
	s_delay_alu instid0(VALU_DEP_1) | instskip(NEXT) | instid1(VALU_DEP_1)
	v_add_nc_u32_e32 v79, v79, v70
	v_dual_lshrrev_b32 v80, 31, v79 :: v_dual_ashrrev_i32 v79, 4, v79
	s_delay_alu instid0(VALU_DEP_1) | instskip(NEXT) | instid1(VALU_DEP_1)
	v_add_nc_u32_e32 v79, v79, v80
	v_mul_lo_u32 v79, v79, 30
	s_delay_alu instid0(VALU_DEP_1) | instskip(NEXT) | instid1(VALU_DEP_1)
	v_sub_nc_u32_e32 v70, v70, v79
	v_cmp_eq_u32_e64 s0, 28, v70
	v_cmp_eq_u32_e64 s1, 27, v70
	;; [unrolled: 1-line block ×30, first 2 shown]
	s_wait_loadcnt 0x0
	s_delay_alu instid0(VALU_DEP_1)
	v_dual_cndmask_b32 v61, v61, v63, s29 :: v_dual_cndmask_b32 v60, v60, v63, s0
	v_dual_cndmask_b32 v59, v59, v63, s1 :: v_dual_cndmask_b32 v58, v58, v63, s2
	;; [unrolled: 1-line block ×15, first 2 shown]
	s_wait_xcnt 0x0
	s_and_not1_b32 exec_lo, exec_lo, s33
	s_cbranch_execnz .LBB1_16
; %bb.17:                               ;   in Loop: Header=BB1_12 Depth=1
	s_or_b32 exec_lo, exec_lo, s33
.LBB1_18:                               ;   in Loop: Header=BB1_12 Depth=1
	s_delay_alu instid0(SALU_CYCLE_1)
	s_or_b32 exec_lo, exec_lo, s31
                                        ; implicit-def: $vgpr65
.LBB1_19:                               ;   in Loop: Header=BB1_12 Depth=1
	s_and_not1_saveexec_b32 s73, s30
	s_cbranch_execz .LBB1_31
; %bb.20:                               ;   in Loop: Header=BB1_12 Depth=1
	v_mad_u32 v65, 0x1984a2d, v65, 1
	s_mov_b32 s74, exec_lo
	s_delay_alu instid0(VALU_DEP_1) | instskip(NEXT) | instid1(VALU_DEP_1)
	v_and_b32_e32 v75, 0x7fffffff, v65
	v_cvt_f32_u32_e32 v32, v75
	s_delay_alu instid0(VALU_DEP_1) | instskip(NEXT) | instid1(VALU_DEP_1)
	v_mul_f32_e32 v32, 0x30000000, v32
	v_fma_f32 v66, v32, 2.0, 1.0
	v_mov_b64_e32 v[62:63], v[30:31]
	v_mov_b64_e32 v[60:61], v[28:29]
	;; [unrolled: 1-line block ×16, first 2 shown]
	v_cmpx_lt_f32_e32 0, v66
	s_cbranch_execz .LBB1_30
; %bb.21:                               ;   in Loop: Header=BB1_12 Depth=1
	v_mov_b64_e32 v[62:63], v[30:31]
	v_mov_b64_e32 v[60:61], v[28:29]
	;; [unrolled: 1-line block ×16, first 2 shown]
	s_mov_b32 s75, 0
	s_mov_b32 s76, 0
	s_branch .LBB1_24
.LBB1_22:                               ;   in Loop: Header=BB1_24 Depth=2
	s_or_b32 exec_lo, exec_lo, s78
.LBB1_23:                               ;   in Loop: Header=BB1_24 Depth=2
	s_delay_alu instid0(SALU_CYCLE_1) | instskip(SKIP_2) | instid1(SALU_CYCLE_1)
	s_or_b32 exec_lo, exec_lo, s77
	v_mad_u32 v65, 0x1984a2d, v65, 1
	s_add_co_i32 s76, s76, 1
	s_cvt_f32_u32 s0, s76
	s_delay_alu instid0(VALU_DEP_1) | instskip(NEXT) | instid1(VALU_DEP_1)
	v_and_b32_e32 v75, 0x7fffffff, v65
	v_cvt_f32_u32_e32 v66, v75
	s_delay_alu instid0(VALU_DEP_1) | instskip(NEXT) | instid1(VALU_DEP_1)
	v_mul_f32_e32 v66, 0x30000000, v66
	v_fma_f32 v66, v66, 2.0, 1.0
	s_delay_alu instid0(VALU_DEP_1) | instskip(SKIP_1) | instid1(SALU_CYCLE_1)
	v_cmp_nlt_f32_e32 vcc_lo, s0, v66
	s_or_b32 s75, vcc_lo, s75
	s_and_not1_b32 exec_lo, exec_lo, s75
	s_cbranch_execz .LBB1_29
.LBB1_24:                               ;   Parent Loop BB1_12 Depth=1
                                        ; =>  This Loop Header: Depth=2
                                        ;       Child Loop BB1_27 Depth 3
	v_mad_u32 v66, v65, s69, 0x1984a2e
	v_mad_u32 v67, 0x1984a2d, v65, 1
	;; [unrolled: 1-line block ×3, first 2 shown]
	s_mov_b32 s77, exec_lo
	s_delay_alu instid0(VALU_DEP_3) | instskip(NEXT) | instid1(VALU_DEP_3)
	v_and_b32_e32 v66, 0x7fffffff, v66
	v_and_b32_e32 v68, 0x7fffffff, v67
	s_delay_alu instid0(VALU_DEP_3) | instskip(NEXT) | instid1(VALU_DEP_3)
	v_and_b32_e32 v65, 0x7fffffff, v65
	v_cvt_f32_u32_e32 v67, v66
	s_delay_alu instid0(VALU_DEP_3) | instskip(NEXT) | instid1(VALU_DEP_1)
	v_cvt_f32_u32_e32 v66, v68
	v_pk_mul_f32 v[66:67], v[66:67], s[68:69] op_sel_hi:[1,0]
	s_delay_alu instid0(VALU_DEP_1) | instskip(NEXT) | instid1(VALU_DEP_1)
	v_pk_mul_f32 v[68:69], v[66:67], s[70:71] op_sel_hi:[1,0]
	v_cvt_i32_f32_e32 v66, v69
	s_delay_alu instid0(VALU_DEP_2) | instskip(NEXT) | instid1(VALU_DEP_1)
	v_cvt_i32_f32_e32 v67, v68
	v_sub_nc_u32_e32 v68, v67, v66
	s_delay_alu instid0(VALU_DEP_1) | instskip(NEXT) | instid1(VALU_DEP_1)
	v_sub_nc_u32_e32 v69, 0, v68
	v_max_i32_e32 v68, v68, v69
	v_cvt_f32_u32_e32 v69, v65
	s_delay_alu instid0(VALU_DEP_1) | instskip(NEXT) | instid1(VALU_DEP_1)
	v_dual_mul_f32 v69, 0x30000000, v69 :: v_dual_add_nc_u32 v68, -1, v68
	v_cvt_f32_i32_e32 v68, v68
	s_delay_alu instid0(VALU_DEP_1) | instskip(NEXT) | instid1(VALU_DEP_1)
	v_fma_f32 v68, v69, v68, 1.0
	v_cvt_i32_f32_e32 v68, v68
	s_delay_alu instid0(VALU_DEP_1)
	v_cmpx_lt_i32_e32 0, v68
	s_cbranch_execz .LBB1_23
; %bb.25:                               ;   in Loop: Header=BB1_24 Depth=2
	s_mov_b32 s78, 0
	s_mov_b32 s79, 0
	s_branch .LBB1_27
.LBB1_26:                               ;   in Loop: Header=BB1_27 Depth=3
	s_or_b32 exec_lo, exec_lo, s80
	s_add_co_i32 s79, s79, 1
	s_delay_alu instid0(SALU_CYCLE_1) | instskip(SKIP_1) | instid1(SALU_CYCLE_1)
	v_cmp_eq_u32_e32 vcc_lo, s79, v68
	s_or_b32 s78, vcc_lo, s78
	s_and_not1_b32 exec_lo, exec_lo, s78
	s_cbranch_execz .LBB1_22
.LBB1_27:                               ;   Parent Loop BB1_12 Depth=1
                                        ;     Parent Loop BB1_24 Depth=2
                                        ; =>    This Inner Loop Header: Depth=3
	v_dual_add_nc_u32 v69, s79, v66 :: v_dual_add_nc_u32 v70, s79, v67
	s_mov_b32 s80, exec_lo
	s_delay_alu instid0(VALU_DEP_1) | instskip(NEXT) | instid1(VALU_DEP_1)
	v_mul_hi_i32 v75, 0x88888889, v70
	v_add_nc_u32_e32 v75, v75, v70
	s_delay_alu instid0(VALU_DEP_1) | instskip(NEXT) | instid1(VALU_DEP_1)
	v_dual_lshrrev_b32 v78, 31, v75 :: v_dual_ashrrev_i32 v75, 4, v75
	v_add_nc_u32_e32 v75, v75, v78
	s_delay_alu instid0(VALU_DEP_1) | instskip(NEXT) | instid1(VALU_DEP_1)
	v_mul_lo_u32 v75, v75, 30
	v_sub_nc_u32_e32 v70, v70, v75
	v_mul_hi_i32 v75, 0x88888889, v69
	s_delay_alu instid0(VALU_DEP_1) | instskip(NEXT) | instid1(VALU_DEP_1)
	v_add_nc_u32_e32 v75, v75, v69
	v_dual_lshrrev_b32 v78, 31, v75 :: v_dual_ashrrev_i32 v75, 4, v75
	s_delay_alu instid0(VALU_DEP_1) | instskip(NEXT) | instid1(VALU_DEP_1)
	v_add_nc_u32_e32 v75, v75, v78
	v_mul_lo_u32 v75, v75, 30
	s_delay_alu instid0(VALU_DEP_1) | instskip(NEXT) | instid1(VALU_DEP_1)
	v_sub_nc_u32_e32 v69, v69, v75
	v_cmpx_ne_u32_e64 v70, v69
	s_cbranch_execz .LBB1_26
; %bb.28:                               ;   in Loop: Header=BB1_27 Depth=3
	v_cmp_eq_u32_e64 s6, 1, v69
	v_cmp_eq_u32_e32 vcc_lo, 1, v70
	v_cmp_eq_u32_e64 s18, 2, v69
	v_cmp_eq_u32_e64 s0, 2, v70
	v_cmp_eq_u32_e64 s19, 3, v69
	v_dual_cndmask_b32 v62, v32, v33, s6 :: v_dual_cndmask_b32 v63, v32, v33, vcc_lo
	v_cmp_eq_u32_e64 s1, 3, v70
	v_cmp_eq_u32_e64 s21, 4, v69
	v_cmp_eq_u32_e64 s2, 4, v70
	s_delay_alu instid0(VALU_DEP_4) | instskip(SKIP_3) | instid1(VALU_DEP_4)
	v_dual_cndmask_b32 v62, v62, v34, s18 :: v_dual_cndmask_b32 v63, v63, v34, s0
	v_cmp_eq_u32_e64 s22, 5, v69
	v_cmp_eq_u32_e64 s3, 5, v70
	v_cmp_eq_u32_e64 s24, 6, v69
	v_dual_cndmask_b32 v62, v62, v35, s19 :: v_dual_cndmask_b32 v63, v63, v35, s1
	v_cmp_eq_u32_e64 s4, 6, v70
	v_cmp_eq_u32_e64 s25, 7, v69
	v_cmp_eq_u32_e64 s5, 7, v70
	s_delay_alu instid0(VALU_DEP_4) | instskip(SKIP_3) | instid1(VALU_DEP_4)
	v_dual_cndmask_b32 v62, v62, v36, s21 :: v_dual_cndmask_b32 v63, v63, v36, s2
	v_cmp_eq_u32_e64 s26, 8, v69
	v_cmp_eq_u32_e64 s7, 8, v70
	v_cmp_eq_u32_e64 s28, 9, v69
	v_dual_cndmask_b32 v62, v62, v37, s22 :: v_dual_cndmask_b32 v63, v63, v37, s3
	;; [unrolled: 9-line block ×9, first 2 shown]
	s_delay_alu instid0(VALU_DEP_1) | instskip(NEXT) | instid1(VALU_DEP_1)
	v_dual_cndmask_b32 v62, v62, v52, s41 :: v_dual_cndmask_b32 v63, v63, v52, s23
	v_dual_cndmask_b32 v62, v62, v53, s42 :: v_dual_cndmask_b32 v63, v63, v53, s27
	s_delay_alu instid0(VALU_DEP_1) | instskip(NEXT) | instid1(VALU_DEP_1)
	v_dual_cndmask_b32 v62, v62, v54, s43 :: v_dual_cndmask_b32 v63, v63, v54, s30
	v_dual_cndmask_b32 v62, v62, v55, s44 :: v_dual_cndmask_b32 v63, v63, v55, s45
	;; [unrolled: 3-line block ×5, first 2 shown]
	s_delay_alu instid0(VALU_DEP_1) | instskip(NEXT) | instid1(VALU_DEP_1)
	v_sub_nc_u32_e32 v62, v63, v62
	v_dual_cndmask_b32 v33, v33, v62, vcc_lo :: v_dual_cndmask_b32 v32, v32, v62, s58
	s_delay_alu instid0(VALU_DEP_1) | instskip(SKIP_3) | instid1(VALU_DEP_4)
	v_dual_cndmask_b32 v63, v32, v33, s6 :: v_dual_cndmask_b32 v34, v34, v62, s0
	v_cndmask_b32_e64 v35, v35, v62, s1
	v_dual_cndmask_b32 v39, v39, v62, s5 :: v_dual_cndmask_b32 v40, v40, v62, s7
	v_dual_cndmask_b32 v43, v43, v62, s10 :: v_dual_cndmask_b32 v45, v45, v62, s12
	v_cndmask_b32_e64 v63, v63, v34, s18
	v_dual_cndmask_b32 v36, v36, v62, s2 :: v_dual_cndmask_b32 v47, v47, v62, s14
	v_dual_cndmask_b32 v50, v50, v62, s17 :: v_dual_cndmask_b32 v51, v51, v62, s20
	s_delay_alu instid0(VALU_DEP_3) | instskip(SKIP_2) | instid1(VALU_DEP_3)
	v_dual_cndmask_b32 v56, v56, v62, s47 :: v_dual_cndmask_b32 v63, v63, v35, s19
	v_dual_cndmask_b32 v37, v37, v62, s3 :: v_dual_cndmask_b32 v55, v55, v62, s45
	;; [unrolled: 1-line block ×5, first 2 shown]
	s_delay_alu instid0(VALU_DEP_2) | instskip(SKIP_2) | instid1(VALU_DEP_3)
	v_dual_cndmask_b32 v44, v44, v62, s11 :: v_dual_cndmask_b32 v63, v63, v37, s22
	v_dual_cndmask_b32 v46, v46, v62, s13 :: v_dual_cndmask_b32 v48, v48, v62, s15
	;; [unrolled: 1-line block ×3, first 2 shown]
	v_cndmask_b32_e64 v63, v63, v38, s24
	v_dual_cndmask_b32 v53, v53, v62, s27 :: v_dual_cndmask_b32 v54, v54, v62, s30
	v_dual_cndmask_b32 v57, v57, v62, s49 :: v_dual_cndmask_b32 v58, v58, v62, s51
	s_delay_alu instid0(VALU_DEP_3) | instskip(NEXT) | instid1(VALU_DEP_1)
	v_dual_cndmask_b32 v63, v63, v39, s25 :: v_dual_cndmask_b32 v60, v60, v62, s55
	v_cndmask_b32_e64 v63, v63, v40, s26
	s_delay_alu instid0(VALU_DEP_1) | instskip(NEXT) | instid1(VALU_DEP_1)
	v_cndmask_b32_e64 v63, v63, v41, s28
	v_cndmask_b32_e64 v63, v63, v42, s29
	s_delay_alu instid0(VALU_DEP_1) | instskip(NEXT) | instid1(VALU_DEP_1)
	v_cndmask_b32_e64 v63, v63, v43, s31
	;; [unrolled: 3-line block ×11, first 2 shown]
	v_add_nc_u32_e32 v62, v63, v62
	s_delay_alu instid0(VALU_DEP_1) | instskip(SKIP_2) | instid1(VALU_DEP_2)
	v_cndmask_b32_e64 v33, v33, v62, s6
	v_cmp_eq_u32_e64 s6, 0, v69
	v_dual_cndmask_b32 v34, v34, v62, s18 :: v_dual_cndmask_b32 v35, v35, v62, s19
	v_cndmask_b32_e64 v32, v32, v62, s6
	s_delay_alu instid0(VALU_DEP_1) | instskip(NEXT) | instid1(VALU_DEP_1)
	v_cndmask_b32_e32 v63, v32, v33, vcc_lo
	v_cndmask_b32_e64 v63, v63, v34, s0
	s_delay_alu instid0(VALU_DEP_1) | instskip(SKIP_2) | instid1(VALU_DEP_3)
	v_dual_cndmask_b32 v63, v63, v35, s1 :: v_dual_cndmask_b32 v36, v36, v62, s21
	v_dual_cndmask_b32 v37, v37, v62, s22 :: v_dual_cndmask_b32 v38, v38, v62, s24
	;; [unrolled: 1-line block ×6, first 2 shown]
	s_delay_alu instid0(VALU_DEP_3) | instskip(SKIP_3) | instid1(VALU_DEP_4)
	v_cndmask_b32_e64 v63, v63, v37, s3
	v_dual_cndmask_b32 v47, v47, v62, s36 :: v_dual_cndmask_b32 v54, v54, v62, s43
	v_dual_cndmask_b32 v45, v45, v62, s34 :: v_dual_cndmask_b32 v51, v51, v62, s40
	v_cndmask_b32_e64 v60, v60, v62, s54
	v_cndmask_b32_e64 v63, v63, v38, s4
	v_dual_cndmask_b32 v46, v46, v62, s35 :: v_dual_cndmask_b32 v55, v55, v62, s44
	v_dual_cndmask_b32 v48, v48, v62, s37 :: v_dual_cndmask_b32 v50, v50, v62, s39
	s_delay_alu instid0(VALU_DEP_3) | instskip(SKIP_1) | instid1(VALU_DEP_2)
	v_dual_cndmask_b32 v63, v63, v39, s5 :: v_dual_cndmask_b32 v52, v52, v62, s41
	v_dual_cndmask_b32 v53, v53, v62, s42 :: v_dual_cndmask_b32 v56, v56, v62, s46
	;; [unrolled: 1-line block ×4, first 2 shown]
	v_cndmask_b32_e64 v59, v59, v62, s52
	s_delay_alu instid0(VALU_DEP_3) | instskip(NEXT) | instid1(VALU_DEP_1)
	v_cndmask_b32_e64 v63, v63, v41, s8
	v_cndmask_b32_e64 v63, v63, v42, s9
	s_delay_alu instid0(VALU_DEP_1) | instskip(NEXT) | instid1(VALU_DEP_1)
	v_cndmask_b32_e64 v63, v63, v43, s10
	v_cndmask_b32_e64 v63, v63, v44, s11
	s_delay_alu instid0(VALU_DEP_1) | instskip(NEXT) | instid1(VALU_DEP_1)
	;; [unrolled: 3-line block ×10, first 2 shown]
	v_cndmask_b32_e64 v63, v63, v61, s57
	v_sub_nc_u32_e32 v62, v62, v63
	s_delay_alu instid0(VALU_DEP_1)
	v_dual_cndmask_b32 v61, v61, v62, s57 :: v_dual_cndmask_b32 v60, v60, v62, s55
	v_dual_cndmask_b32 v59, v59, v62, s53 :: v_dual_cndmask_b32 v49, v49, v62, s16
	;; [unrolled: 1-line block ×14, first 2 shown]
	v_dual_cndmask_b32 v33, v33, v62, vcc_lo :: v_dual_cndmask_b32 v32, v32, v62, s58
	s_branch .LBB1_26
.LBB1_29:                               ;   in Loop: Header=BB1_12 Depth=1
	s_or_b32 exec_lo, exec_lo, s75
.LBB1_30:                               ;   in Loop: Header=BB1_12 Depth=1
	s_delay_alu instid0(SALU_CYCLE_1)
	s_or_b32 exec_lo, exec_lo, s74
.LBB1_31:                               ;   in Loop: Header=BB1_12 Depth=1
	s_delay_alu instid0(SALU_CYCLE_1)
	s_or_b32 exec_lo, exec_lo, s73
                                        ; implicit-def: $vgpr65
.LBB1_32:                               ;   in Loop: Header=BB1_12 Depth=1
	s_and_not1_saveexec_b32 s72, s72
	s_cbranch_execz .LBB1_40
; %bb.33:                               ;   in Loop: Header=BB1_12 Depth=1
	v_mad_u32 v65, 0x1984a2d, v65, 1
	s_mov_b32 s73, exec_lo
	s_delay_alu instid0(VALU_DEP_1) | instskip(NEXT) | instid1(VALU_DEP_1)
	v_and_b32_e32 v75, 0x7fffffff, v65
	v_cvt_f32_u32_e32 v32, v75
	s_delay_alu instid0(VALU_DEP_1) | instskip(NEXT) | instid1(VALU_DEP_1)
	v_mul_f32_e32 v32, 0x30000000, v32
	v_fma_f32 v66, v32, 4.0, 1.0
	v_mov_b64_e32 v[62:63], v[30:31]
	v_mov_b64_e32 v[60:61], v[28:29]
	;; [unrolled: 1-line block ×16, first 2 shown]
	v_cmpx_lt_f32_e32 0, v66
	s_cbranch_execz .LBB1_39
; %bb.34:                               ;   in Loop: Header=BB1_12 Depth=1
	v_mov_b64_e32 v[62:63], v[30:31]
	v_mov_b64_e32 v[60:61], v[28:29]
	;; [unrolled: 1-line block ×16, first 2 shown]
	s_mov_b32 s75, 1
	s_mov_b32 s74, 0
	s_branch .LBB1_36
.LBB1_35:                               ;   in Loop: Header=BB1_36 Depth=2
	s_or_b32 exec_lo, exec_lo, s76
	v_mad_u32 v65, 0x1984a2d, v65, 1
	s_cvt_f32_u32 s0, s75
	s_add_co_i32 s75, s75, 1
	s_delay_alu instid0(VALU_DEP_1) | instskip(NEXT) | instid1(VALU_DEP_1)
	v_and_b32_e32 v75, 0x7fffffff, v65
	v_cvt_f32_u32_e32 v66, v75
	s_delay_alu instid0(VALU_DEP_1) | instskip(NEXT) | instid1(VALU_DEP_1)
	v_mul_f32_e32 v66, 0x30000000, v66
	v_fma_f32 v66, v66, 4.0, 1.0
	s_delay_alu instid0(VALU_DEP_1) | instskip(SKIP_1) | instid1(SALU_CYCLE_1)
	v_cmp_nlt_f32_e32 vcc_lo, s0, v66
	s_or_b32 s74, vcc_lo, s74
	s_and_not1_b32 exec_lo, exec_lo, s74
	s_cbranch_execz .LBB1_38
.LBB1_36:                               ;   Parent Loop BB1_12 Depth=1
                                        ; =>  This Inner Loop Header: Depth=2
	v_mad_u32 v66, v65, s69, 0x1984a2e
	v_mad_u32 v67, 0x1984a2d, v65, 1
	s_mov_b32 s76, exec_lo
	s_delay_alu instid0(VALU_DEP_2) | instskip(NEXT) | instid1(VALU_DEP_2)
	v_and_b32_e32 v65, 0x7fffffff, v66
	v_and_b32_e32 v66, 0x7fffffff, v67
	s_delay_alu instid0(VALU_DEP_2) | instskip(NEXT) | instid1(VALU_DEP_2)
	v_cvt_f32_u32_e32 v67, v65
	v_cvt_f32_u32_e32 v66, v66
	s_delay_alu instid0(VALU_DEP_1) | instskip(NEXT) | instid1(VALU_DEP_1)
	v_pk_mul_f32 v[66:67], v[66:67], s[68:69] op_sel_hi:[1,0]
	v_pk_mul_f32 v[68:69], v[66:67], s[70:71] op_sel_hi:[1,0]
	s_delay_alu instid0(VALU_DEP_1) | instskip(NEXT) | instid1(VALU_DEP_2)
	v_cvt_i32_f32_e32 v67, v68
	v_cvt_i32_f32_e32 v66, v69
	s_delay_alu instid0(VALU_DEP_1)
	v_cmpx_ne_u32_e64 v67, v66
	s_cbranch_execz .LBB1_35
; %bb.37:                               ;   in Loop: Header=BB1_36 Depth=2
	v_cmp_eq_u32_e64 s6, 1, v66
	v_cmp_eq_u32_e32 vcc_lo, 1, v67
	v_cmp_eq_u32_e64 s18, 2, v66
	v_cmp_eq_u32_e64 s0, 2, v67
	;; [unrolled: 1-line block ×3, first 2 shown]
	v_dual_cndmask_b32 v62, v32, v33, s6 :: v_dual_cndmask_b32 v63, v32, v33, vcc_lo
	v_cmp_eq_u32_e64 s1, 3, v67
	v_cmp_eq_u32_e64 s21, 4, v66
	v_cmp_eq_u32_e64 s2, 4, v67
	s_delay_alu instid0(VALU_DEP_4) | instskip(SKIP_3) | instid1(VALU_DEP_4)
	v_dual_cndmask_b32 v62, v62, v34, s18 :: v_dual_cndmask_b32 v63, v63, v34, s0
	v_cmp_eq_u32_e64 s22, 5, v66
	v_cmp_eq_u32_e64 s3, 5, v67
	v_cmp_eq_u32_e64 s24, 6, v66
	v_dual_cndmask_b32 v62, v62, v35, s19 :: v_dual_cndmask_b32 v63, v63, v35, s1
	v_cmp_eq_u32_e64 s4, 6, v67
	v_cmp_eq_u32_e64 s25, 7, v66
	v_cmp_eq_u32_e64 s5, 7, v67
	s_delay_alu instid0(VALU_DEP_4) | instskip(SKIP_3) | instid1(VALU_DEP_4)
	v_dual_cndmask_b32 v62, v62, v36, s21 :: v_dual_cndmask_b32 v63, v63, v36, s2
	v_cmp_eq_u32_e64 s26, 8, v66
	v_cmp_eq_u32_e64 s7, 8, v67
	v_cmp_eq_u32_e64 s28, 9, v66
	v_dual_cndmask_b32 v62, v62, v37, s22 :: v_dual_cndmask_b32 v63, v63, v37, s3
	;; [unrolled: 9-line block ×9, first 2 shown]
	s_delay_alu instid0(VALU_DEP_1) | instskip(NEXT) | instid1(VALU_DEP_1)
	v_dual_cndmask_b32 v62, v62, v52, s41 :: v_dual_cndmask_b32 v63, v63, v52, s23
	v_dual_cndmask_b32 v62, v62, v53, s42 :: v_dual_cndmask_b32 v63, v63, v53, s27
	s_delay_alu instid0(VALU_DEP_1) | instskip(NEXT) | instid1(VALU_DEP_1)
	v_dual_cndmask_b32 v62, v62, v54, s43 :: v_dual_cndmask_b32 v63, v63, v54, s30
	v_dual_cndmask_b32 v62, v62, v55, s44 :: v_dual_cndmask_b32 v63, v63, v55, s45
	;; [unrolled: 3-line block ×5, first 2 shown]
	s_delay_alu instid0(VALU_DEP_1) | instskip(NEXT) | instid1(VALU_DEP_1)
	v_sub_nc_u32_e32 v62, v63, v62
	v_dual_cndmask_b32 v33, v33, v62, vcc_lo :: v_dual_cndmask_b32 v32, v32, v62, s58
	s_delay_alu instid0(VALU_DEP_1) | instskip(SKIP_3) | instid1(VALU_DEP_4)
	v_dual_cndmask_b32 v63, v32, v33, s6 :: v_dual_cndmask_b32 v34, v34, v62, s0
	v_cndmask_b32_e64 v35, v35, v62, s1
	v_dual_cndmask_b32 v39, v39, v62, s5 :: v_dual_cndmask_b32 v40, v40, v62, s7
	v_dual_cndmask_b32 v43, v43, v62, s10 :: v_dual_cndmask_b32 v45, v45, v62, s12
	v_cndmask_b32_e64 v63, v63, v34, s18
	v_dual_cndmask_b32 v36, v36, v62, s2 :: v_dual_cndmask_b32 v47, v47, v62, s14
	v_dual_cndmask_b32 v50, v50, v62, s17 :: v_dual_cndmask_b32 v51, v51, v62, s20
	s_delay_alu instid0(VALU_DEP_3) | instskip(SKIP_2) | instid1(VALU_DEP_3)
	v_dual_cndmask_b32 v56, v56, v62, s47 :: v_dual_cndmask_b32 v63, v63, v35, s19
	v_dual_cndmask_b32 v37, v37, v62, s3 :: v_dual_cndmask_b32 v55, v55, v62, s45
	;; [unrolled: 1-line block ×5, first 2 shown]
	s_delay_alu instid0(VALU_DEP_2) | instskip(SKIP_2) | instid1(VALU_DEP_3)
	v_dual_cndmask_b32 v44, v44, v62, s11 :: v_dual_cndmask_b32 v63, v63, v37, s22
	v_dual_cndmask_b32 v46, v46, v62, s13 :: v_dual_cndmask_b32 v48, v48, v62, s15
	;; [unrolled: 1-line block ×3, first 2 shown]
	v_cndmask_b32_e64 v63, v63, v38, s24
	v_dual_cndmask_b32 v53, v53, v62, s27 :: v_dual_cndmask_b32 v54, v54, v62, s30
	v_dual_cndmask_b32 v57, v57, v62, s49 :: v_dual_cndmask_b32 v58, v58, v62, s51
	s_delay_alu instid0(VALU_DEP_3) | instskip(NEXT) | instid1(VALU_DEP_1)
	v_dual_cndmask_b32 v63, v63, v39, s25 :: v_dual_cndmask_b32 v60, v60, v62, s55
	v_cndmask_b32_e64 v63, v63, v40, s26
	s_delay_alu instid0(VALU_DEP_1) | instskip(NEXT) | instid1(VALU_DEP_1)
	v_cndmask_b32_e64 v63, v63, v41, s28
	v_cndmask_b32_e64 v63, v63, v42, s29
	s_delay_alu instid0(VALU_DEP_1) | instskip(NEXT) | instid1(VALU_DEP_1)
	v_cndmask_b32_e64 v63, v63, v43, s31
	;; [unrolled: 3-line block ×11, first 2 shown]
	v_add_nc_u32_e32 v62, v63, v62
	s_delay_alu instid0(VALU_DEP_1) | instskip(SKIP_2) | instid1(VALU_DEP_2)
	v_cndmask_b32_e64 v33, v33, v62, s6
	v_cmp_eq_u32_e64 s6, 0, v66
	v_dual_cndmask_b32 v34, v34, v62, s18 :: v_dual_cndmask_b32 v35, v35, v62, s19
	v_cndmask_b32_e64 v32, v32, v62, s6
	s_delay_alu instid0(VALU_DEP_1) | instskip(NEXT) | instid1(VALU_DEP_1)
	v_cndmask_b32_e32 v63, v32, v33, vcc_lo
	v_cndmask_b32_e64 v63, v63, v34, s0
	s_delay_alu instid0(VALU_DEP_1) | instskip(SKIP_2) | instid1(VALU_DEP_3)
	v_dual_cndmask_b32 v63, v63, v35, s1 :: v_dual_cndmask_b32 v36, v36, v62, s21
	v_dual_cndmask_b32 v37, v37, v62, s22 :: v_dual_cndmask_b32 v38, v38, v62, s24
	;; [unrolled: 1-line block ×6, first 2 shown]
	s_delay_alu instid0(VALU_DEP_3) | instskip(SKIP_3) | instid1(VALU_DEP_4)
	v_cndmask_b32_e64 v63, v63, v37, s3
	v_dual_cndmask_b32 v47, v47, v62, s36 :: v_dual_cndmask_b32 v54, v54, v62, s43
	v_dual_cndmask_b32 v45, v45, v62, s34 :: v_dual_cndmask_b32 v51, v51, v62, s40
	v_cndmask_b32_e64 v60, v60, v62, s54
	v_cndmask_b32_e64 v63, v63, v38, s4
	v_dual_cndmask_b32 v46, v46, v62, s35 :: v_dual_cndmask_b32 v55, v55, v62, s44
	v_dual_cndmask_b32 v48, v48, v62, s37 :: v_dual_cndmask_b32 v50, v50, v62, s39
	s_delay_alu instid0(VALU_DEP_3) | instskip(SKIP_1) | instid1(VALU_DEP_2)
	v_dual_cndmask_b32 v63, v63, v39, s5 :: v_dual_cndmask_b32 v52, v52, v62, s41
	v_dual_cndmask_b32 v53, v53, v62, s42 :: v_dual_cndmask_b32 v56, v56, v62, s46
	;; [unrolled: 1-line block ×4, first 2 shown]
	v_cndmask_b32_e64 v59, v59, v62, s52
	s_delay_alu instid0(VALU_DEP_3) | instskip(NEXT) | instid1(VALU_DEP_1)
	v_cndmask_b32_e64 v63, v63, v41, s8
	v_cndmask_b32_e64 v63, v63, v42, s9
	s_delay_alu instid0(VALU_DEP_1) | instskip(NEXT) | instid1(VALU_DEP_1)
	v_cndmask_b32_e64 v63, v63, v43, s10
	v_cndmask_b32_e64 v63, v63, v44, s11
	s_delay_alu instid0(VALU_DEP_1) | instskip(NEXT) | instid1(VALU_DEP_1)
	;; [unrolled: 3-line block ×10, first 2 shown]
	v_cndmask_b32_e64 v63, v63, v61, s57
	v_sub_nc_u32_e32 v62, v62, v63
	s_delay_alu instid0(VALU_DEP_1)
	v_dual_cndmask_b32 v61, v61, v62, s57 :: v_dual_cndmask_b32 v60, v60, v62, s55
	v_dual_cndmask_b32 v59, v59, v62, s53 :: v_dual_cndmask_b32 v49, v49, v62, s16
	;; [unrolled: 1-line block ×14, first 2 shown]
	v_dual_cndmask_b32 v33, v33, v62, vcc_lo :: v_dual_cndmask_b32 v32, v32, v62, s58
	s_branch .LBB1_35
.LBB1_38:                               ;   in Loop: Header=BB1_12 Depth=1
	s_or_b32 exec_lo, exec_lo, s74
.LBB1_39:                               ;   in Loop: Header=BB1_12 Depth=1
	s_delay_alu instid0(SALU_CYCLE_1)
	s_or_b32 exec_lo, exec_lo, s73
.LBB1_40:                               ;   in Loop: Header=BB1_12 Depth=1
	s_delay_alu instid0(SALU_CYCLE_1)
	s_or_b32 exec_lo, exec_lo, s72
	v_dual_mov_b32 v65, v64 :: v_dual_mov_b32 v66, v64
	v_mov_b32_e32 v67, v64
	v_mov_b64_e32 v[80:81], s[62:63]
	v_mov_b64_e32 v[78:79], s[60:61]
	s_mov_b32 s0, 0
	scratch_store_b128 off, v[64:67], off offset:1680
	s_wait_xcnt 0x0
	v_mov_b32_e32 v67, v76
	s_clause 0x6
	scratch_store_b128 off, v[78:81], off offset:1712
	scratch_store_b128 off, v[64:67], off offset:1696
	;; [unrolled: 1-line block ×6, first 2 shown]
	scratch_store_b64 off, v[72:73], off offset:1792
	s_branch .LBB1_42
.LBB1_41:                               ;   in Loop: Header=BB1_42 Depth=2
	s_or_b32 exec_lo, exec_lo, s1
	s_add_co_i32 s0, s0, 1
	s_delay_alu instid0(SALU_CYCLE_1)
	s_cmp_lg_u32 s0, 30
	s_cbranch_scc0 .LBB1_50
.LBB1_42:                               ;   Parent Loop BB1_12 Depth=1
                                        ; =>  This Loop Header: Depth=2
                                        ;       Child Loop BB1_45 Depth 3
                                        ;       Child Loop BB1_49 Depth 3
	s_lshl_b32 s1, s0, 2
	s_delay_alu instid0(SALU_CYCLE_1)
	s_addk_co_i32 s1, 0x690
	scratch_load_b32 v65, off, s1
	s_wait_xcnt 0x0
	s_mov_b32 s1, exec_lo
	s_wait_loadcnt 0x0
	v_cmpx_lt_i32_e32 0, v65
	s_cbranch_execz .LBB1_41
; %bb.43:                               ;   in Loop: Header=BB1_42 Depth=2
	s_mov_b32 m0, s0
	s_mov_b32 s3, -1
	v_movrels_b32_e32 v67, v32
	s_mov_b32 s2, exec_lo
	v_mov_b32_e32 v70, 0
	s_delay_alu instid0(VALU_DEP_2) | instskip(SKIP_2) | instid1(VALU_DEP_2)
	v_cmp_lt_i32_e32 vcc_lo, v32, v67
	v_cndmask_b32_e64 v66, 0, 14, vcc_lo
	v_cmp_lt_i32_e32 vcc_lo, v33, v67
	v_add_nc_u32_e32 v68, 14, v66
	s_delay_alu instid0(VALU_DEP_1) | instskip(SKIP_1) | instid1(VALU_DEP_2)
	v_cndmask_b32_e32 v66, v66, v68, vcc_lo
	v_cmp_lt_i32_e32 vcc_lo, v34, v67
	v_add_nc_u32_e32 v68, 14, v66
	s_delay_alu instid0(VALU_DEP_1) | instskip(SKIP_1) | instid1(VALU_DEP_2)
	v_cndmask_b32_e32 v66, v66, v68, vcc_lo
	v_cmp_lt_i32_e32 vcc_lo, v35, v67
	v_add_nc_u32_e32 v68, 14, v66
	s_delay_alu instid0(VALU_DEP_1) | instskip(SKIP_1) | instid1(VALU_DEP_2)
	v_cndmask_b32_e32 v66, v66, v68, vcc_lo
	v_cmp_lt_i32_e32 vcc_lo, v36, v67
	v_add_nc_u32_e32 v68, 14, v66
	s_delay_alu instid0(VALU_DEP_1) | instskip(SKIP_1) | instid1(VALU_DEP_2)
	v_cndmask_b32_e32 v66, v66, v68, vcc_lo
	v_cmp_lt_i32_e32 vcc_lo, v37, v67
	v_add_nc_u32_e32 v68, 14, v66
	s_delay_alu instid0(VALU_DEP_1) | instskip(SKIP_1) | instid1(VALU_DEP_2)
	v_cndmask_b32_e32 v66, v66, v68, vcc_lo
	v_cmp_lt_i32_e32 vcc_lo, v38, v67
	v_add_nc_u32_e32 v68, 14, v66
	s_delay_alu instid0(VALU_DEP_1) | instskip(SKIP_1) | instid1(VALU_DEP_2)
	v_cndmask_b32_e32 v66, v66, v68, vcc_lo
	v_cmp_lt_i32_e32 vcc_lo, v39, v67
	v_add_nc_u32_e32 v68, 13, v66
	s_delay_alu instid0(VALU_DEP_1) | instskip(SKIP_1) | instid1(VALU_DEP_2)
	v_cndmask_b32_e32 v66, v66, v68, vcc_lo
	v_cmp_lt_i32_e32 vcc_lo, v40, v67
	v_add_nc_u32_e32 v68, 13, v66
	s_delay_alu instid0(VALU_DEP_1) | instskip(SKIP_1) | instid1(VALU_DEP_2)
	v_cndmask_b32_e32 v66, v66, v68, vcc_lo
	v_cmp_lt_i32_e32 vcc_lo, v41, v67
	v_add_nc_u32_e32 v68, 13, v66
	s_delay_alu instid0(VALU_DEP_1) | instskip(SKIP_1) | instid1(VALU_DEP_2)
	v_cndmask_b32_e32 v66, v66, v68, vcc_lo
	v_cmp_lt_i32_e32 vcc_lo, v42, v67
	v_add_nc_u32_e32 v68, 13, v66
	s_delay_alu instid0(VALU_DEP_1) | instskip(SKIP_1) | instid1(VALU_DEP_2)
	v_cndmask_b32_e32 v66, v66, v68, vcc_lo
	v_cmp_lt_i32_e32 vcc_lo, v43, v67
	v_add_nc_u32_e32 v68, 13, v66
	s_delay_alu instid0(VALU_DEP_1) | instskip(SKIP_1) | instid1(VALU_DEP_2)
	v_cndmask_b32_e32 v66, v66, v68, vcc_lo
	v_cmp_lt_i32_e32 vcc_lo, v44, v67
	v_add_nc_u32_e32 v68, 13, v66
	s_delay_alu instid0(VALU_DEP_1) | instskip(SKIP_1) | instid1(VALU_DEP_2)
	v_cndmask_b32_e32 v66, v66, v68, vcc_lo
	v_cmp_lt_i32_e32 vcc_lo, v45, v67
	v_add_nc_u32_e32 v68, 13, v66
	s_delay_alu instid0(VALU_DEP_1) | instskip(SKIP_1) | instid1(VALU_DEP_2)
	v_cndmask_b32_e32 v66, v66, v68, vcc_lo
	v_cmp_lt_i32_e32 vcc_lo, v46, v67
	v_add_nc_u32_e32 v68, 13, v66
	s_delay_alu instid0(VALU_DEP_1) | instskip(SKIP_1) | instid1(VALU_DEP_2)
	v_cndmask_b32_e32 v66, v66, v68, vcc_lo
	v_cmp_lt_i32_e32 vcc_lo, v47, v67
	v_add_nc_u32_e32 v68, 13, v66
	s_delay_alu instid0(VALU_DEP_1) | instskip(SKIP_1) | instid1(VALU_DEP_2)
	v_cndmask_b32_e32 v66, v66, v68, vcc_lo
	v_cmp_lt_i32_e32 vcc_lo, v48, v67
	v_add_nc_u32_e32 v68, 13, v66
	s_delay_alu instid0(VALU_DEP_1) | instskip(SKIP_1) | instid1(VALU_DEP_2)
	v_cndmask_b32_e32 v66, v66, v68, vcc_lo
	v_cmp_lt_i32_e32 vcc_lo, v49, v67
	v_add_nc_u32_e32 v68, 13, v66
	s_delay_alu instid0(VALU_DEP_1) | instskip(SKIP_1) | instid1(VALU_DEP_2)
	v_cndmask_b32_e32 v66, v66, v68, vcc_lo
	v_cmp_lt_i32_e32 vcc_lo, v50, v67
	v_add_nc_u32_e32 v68, 13, v66
	s_delay_alu instid0(VALU_DEP_1) | instskip(SKIP_1) | instid1(VALU_DEP_2)
	v_cndmask_b32_e32 v66, v66, v68, vcc_lo
	v_cmp_lt_i32_e32 vcc_lo, v51, v67
	v_add_nc_u32_e32 v68, 13, v66
	s_delay_alu instid0(VALU_DEP_1) | instskip(SKIP_1) | instid1(VALU_DEP_2)
	v_cndmask_b32_e32 v66, v66, v68, vcc_lo
	v_cmp_lt_i32_e32 vcc_lo, v52, v67
	v_add_nc_u32_e32 v68, 13, v66
	s_delay_alu instid0(VALU_DEP_1) | instskip(SKIP_1) | instid1(VALU_DEP_2)
	v_cndmask_b32_e32 v66, v66, v68, vcc_lo
	v_cmp_lt_i32_e32 vcc_lo, v53, v67
	v_add_nc_u32_e32 v68, 13, v66
	s_delay_alu instid0(VALU_DEP_1) | instskip(SKIP_1) | instid1(VALU_DEP_2)
	v_cndmask_b32_e32 v66, v66, v68, vcc_lo
	v_cmp_lt_i32_e32 vcc_lo, v54, v67
	v_add_nc_u32_e32 v68, 13, v66
	s_delay_alu instid0(VALU_DEP_1) | instskip(SKIP_1) | instid1(VALU_DEP_2)
	v_cndmask_b32_e32 v66, v66, v68, vcc_lo
	v_cmp_lt_i32_e32 vcc_lo, v55, v67
	v_add_nc_u32_e32 v68, 13, v66
	s_delay_alu instid0(VALU_DEP_1) | instskip(SKIP_1) | instid1(VALU_DEP_2)
	v_cndmask_b32_e32 v66, v66, v68, vcc_lo
	v_cmp_lt_i32_e32 vcc_lo, v56, v67
	v_add_nc_u32_e32 v68, 13, v66
	s_delay_alu instid0(VALU_DEP_1) | instskip(SKIP_1) | instid1(VALU_DEP_2)
	v_cndmask_b32_e32 v66, v66, v68, vcc_lo
	v_cmp_lt_i32_e32 vcc_lo, v57, v67
	v_add_nc_u32_e32 v68, 13, v66
	s_delay_alu instid0(VALU_DEP_1) | instskip(SKIP_1) | instid1(VALU_DEP_2)
	v_cndmask_b32_e32 v66, v66, v68, vcc_lo
	v_cmp_lt_i32_e32 vcc_lo, v58, v67
	v_add_nc_u32_e32 v68, 13, v66
	s_delay_alu instid0(VALU_DEP_1) | instskip(SKIP_1) | instid1(VALU_DEP_2)
	v_cndmask_b32_e32 v66, v66, v68, vcc_lo
	v_cmp_lt_i32_e32 vcc_lo, v59, v67
	v_add_nc_u32_e32 v68, 13, v66
	s_delay_alu instid0(VALU_DEP_1) | instskip(SKIP_1) | instid1(VALU_DEP_2)
	v_cndmask_b32_e32 v66, v66, v68, vcc_lo
	v_cmp_lt_i32_e32 vcc_lo, v60, v67
	v_add_nc_u32_e32 v68, 13, v66
	s_delay_alu instid0(VALU_DEP_1) | instskip(SKIP_1) | instid1(VALU_DEP_2)
	v_cndmask_b32_e32 v66, v66, v68, vcc_lo
	v_cmp_lt_i32_e32 vcc_lo, v61, v67
	v_add_nc_u32_e32 v68, 13, v66
	s_delay_alu instid0(VALU_DEP_1)
	v_cndmask_b32_e32 v66, v66, v68, vcc_lo
	v_cmpx_ne_u32_e32 1, v65
	s_cbranch_execz .LBB1_47
; %bb.44:                               ;   in Loop: Header=BB1_42 Depth=2
	v_mad_u32 v78, v67, 56, 0
	v_and_b32_e32 v70, 0x7ffffffe, v65
	v_mov_b32_e32 v68, v66
	s_mov_b32 s3, 0
	s_delay_alu instid0(VALU_DEP_2)
	v_mov_b32_e32 v79, v70
.LBB1_45:                               ;   Parent Loop BB1_12 Depth=1
                                        ;     Parent Loop BB1_42 Depth=2
                                        ; =>    This Inner Loop Header: Depth=3
	s_delay_alu instid0(VALU_DEP_1) | instskip(SKIP_1) | instid1(VALU_DEP_1)
	v_dual_ashrrev_i32 v69, 31, v68 :: v_dual_add_nc_u32 v79, -2, v79
	s_wait_kmcnt 0x0
	v_lshl_add_u64 v[80:81], v[68:69], 2, s[66:67]
	s_delay_alu instid0(VALU_DEP_2)
	v_cmp_eq_u32_e32 vcc_lo, 0, v79
	v_add_nc_u32_e32 v68, 2, v68
	global_load_b64 v[80:81], v[80:81], off
	s_or_b32 s3, vcc_lo, s3
	s_wait_loadcnt 0x0
	scratch_store_b64 v78, v[80:81], off
	s_wait_xcnt 0x0
	v_add_nc_u32_e32 v78, 8, v78
	s_and_not1_b32 exec_lo, exec_lo, s3
	s_cbranch_execnz .LBB1_45
; %bb.46:                               ;   in Loop: Header=BB1_42 Depth=2
	s_or_b32 exec_lo, exec_lo, s3
	v_cmp_ne_u32_e32 vcc_lo, v65, v70
	s_or_not1_b32 s3, vcc_lo, exec_lo
.LBB1_47:                               ;   in Loop: Header=BB1_42 Depth=2
	s_or_b32 exec_lo, exec_lo, s2
	s_delay_alu instid0(SALU_CYCLE_1)
	s_and_b32 exec_lo, exec_lo, s3
	s_cbranch_execz .LBB1_41
; %bb.48:                               ;   in Loop: Header=BB1_42 Depth=2
	v_mul_lo_u32 v68, v67, 56
	v_ashrrev_i32_e32 v67, 31, v66
	v_dual_lshlrev_b32 v69, 2, v70 :: v_dual_sub_nc_u32 v65, v65, v70
	s_mov_b32 s2, 0
	s_delay_alu instid0(VALU_DEP_2) | instskip(NEXT) | instid1(VALU_DEP_2)
	v_add_nc_u64_e32 v[66:67], v[66:67], v[70:71]
	v_add3_u32 v68, v68, v69, 0
	s_wait_kmcnt 0x0
	s_delay_alu instid0(VALU_DEP_2)
	v_lshl_add_u64 v[66:67], v[66:67], 2, s[66:67]
.LBB1_49:                               ;   Parent Loop BB1_12 Depth=1
                                        ;     Parent Loop BB1_42 Depth=2
                                        ; =>    This Inner Loop Header: Depth=3
	global_load_b32 v69, v[66:67], off
	v_add_nc_u32_e32 v65, -1, v65
	s_wait_xcnt 0x0
	v_add_nc_u64_e32 v[66:67], 4, v[66:67]
	s_wait_loadcnt 0x0
	scratch_store_b32 v68, v69, off
	s_wait_xcnt 0x0
	v_add_nc_u32_e32 v68, 4, v68
	v_cmp_eq_u32_e32 vcc_lo, 0, v65
	s_or_b32 s2, vcc_lo, s2
	s_delay_alu instid0(SALU_CYCLE_1)
	s_and_not1_b32 exec_lo, exec_lo, s2
	s_cbranch_execnz .LBB1_49
	s_branch .LBB1_41
.LBB1_50:                               ;   in Loop: Header=BB1_12 Depth=1
	s_mov_b32 s0, 7
	s_mov_b32 s1, 0
	s_branch .LBB1_52
.LBB1_51:                               ;   in Loop: Header=BB1_52 Depth=2
	s_and_not1_b32 vcc_lo, exec_lo, s3
	s_cbranch_vccz .LBB1_54
.LBB1_52:                               ;   Parent Loop BB1_12 Depth=1
                                        ; =>  This Inner Loop Header: Depth=2
	s_wait_xcnt 0x0
	s_add_co_i32 s2, s0, -7
	s_add_co_i32 s3, s0, -6
	s_and_b32 s4, s2, 0xffff
	s_add_co_i32 s5, s0, -5
	s_mul_i32 s4, s4, 0x8889
	s_and_b32 s6, s3, 0xffff
	s_lshr_b32 s4, s4, 20
	s_and_b32 s7, s5, 0xffff
	s_mul_i32 s8, s4, 30
	s_mul_i32 s6, s6, 0x8889
	s_sub_co_i32 s2, s2, s8
	s_mul_i32 s7, s7, 0x8889
	s_and_b32 m0, s2, 0xffff
	s_lshr_b32 s2, s6, 20
	s_lshr_b32 s6, s7, 20
	s_mul_i32 s7, s2, 30
	v_movrels_b32_e32 v65, v32
	s_sub_co_i32 s3, s3, s7
	s_mul_i32 s7, s6, 30
	s_and_b32 m0, s3, 0xffff
	s_sub_co_i32 s3, s5, s7
	v_movrels_b32_e32 v66, v32
	s_and_b32 m0, s3, 0xffff
	s_add_co_i32 s3, s0, -4
	s_add_co_i32 s7, s0, -3
	s_and_b32 s5, s3, 0xffff
	s_and_b32 s8, s7, 0xffff
	s_mul_i32 s5, s5, 0x8889
	s_mul_i32 s8, s8, 0x8889
	s_lshr_b32 s5, s5, 20
	s_lshr_b32 s8, s8, 20
	s_mul_i32 s9, s5, 30
	v_movrels_b32_e32 v67, v32
	s_sub_co_i32 s3, s3, s9
	s_mul_i32 s9, s8, 30
	s_and_b32 m0, s3, 0xffff
	s_sub_co_i32 s3, s7, s9
	v_movrels_b32_e32 v68, v32
	s_and_b32 m0, s3, 0xffff
	v_mul_lo_u32 v69, v66, 56
	v_movrels_b32_e32 v66, v32
	v_mul_lo_u32 v65, v65, 56
	v_mul_lo_u32 v70, v67, 56
	;; [unrolled: 1-line block ×3, first 2 shown]
	s_lshl_b32 s4, s4, 2
	v_mul_lo_u32 v79, v66, 56
	s_lshl_b32 s2, s2, 2
	s_lshl_b32 s3, s6, 2
	;; [unrolled: 1-line block ×4, first 2 shown]
	s_clause 0x4
	scratch_load_b32 v66, v65, s4
	scratch_load_b32 v67, v69, s2
	;; [unrolled: 1-line block ×5, first 2 shown]
	s_add_co_i32 s2, s1, 0x710
	s_wait_xcnt 0x2
	s_mov_b32 s3, -1
	s_cmp_eq_u32 s0, 0x18f
	s_wait_loadcnt 0x1
	scratch_store_b128 off, v[66:69], s2
	s_wait_loadcnt 0x0
	scratch_store_b32 off, v65, s2 offset:16
	s_cbranch_scc1 .LBB1_51
; %bb.53:                               ;   in Loop: Header=BB1_52 Depth=2
	s_add_co_i32 s3, s0, -2
	s_add_co_i32 s4, s0, -1
	s_wait_xcnt 0x3
	s_and_b32 s5, s3, 0xffff
	s_and_b32 s7, s4, 0xffff
	s_mul_i32 s5, s5, 0x8889
	s_wait_xcnt 0x2
	s_and_b32 s6, s0, 0xffff
	s_lshr_b32 s5, s5, 20
	s_mul_i32 s7, s7, 0x8889
	s_mul_i32 s8, s5, 30
	;; [unrolled: 1-line block ×3, first 2 shown]
	s_sub_co_i32 s3, s3, s8
	s_lshr_b32 s7, s7, 20
	s_and_b32 m0, s3, 0xffff
	s_mul_i32 s3, s7, 30
	s_lshr_b32 s6, s6, 20
	s_sub_co_i32 s3, s4, s3
	s_mul_i32 s4, s6, 30
	s_wait_xcnt 0x0
	v_movrels_b32_e32 v65, v32
	s_and_b32 m0, s3, 0xffff
	s_sub_co_i32 s3, s0, s4
	v_movrels_b32_e32 v66, v32
	s_and_b32 m0, s3, 0xffff
	v_mul_lo_u32 v65, v65, 56
	v_movrels_b32_e32 v67, v32
	s_lshl_b32 s3, s5, 2
	v_mul_lo_u32 v68, v66, 56
	s_lshl_b32 s4, s7, 2
	s_lshl_b32 s5, s6, 2
	v_mul_lo_u32 v69, v67, 56
	s_add_co_i32 s0, s0, 8
	s_add_co_i32 s1, s1, 32
	s_clause 0x2
	scratch_load_b32 v66, v65, s3
	scratch_load_b32 v67, v68, s4
	;; [unrolled: 1-line block ×3, first 2 shown]
	s_mov_b32 s3, 0
	s_wait_loadcnt 0x0
	scratch_store_b96 off, v[66:68], s2 offset:20
	s_branch .LBB1_51
.LBB1_54:                               ;   in Loop: Header=BB1_12 Depth=1
	scratch_load_b32 v69, off, off offset:1808
	s_wait_xcnt 0x1
	v_mov_b32_e32 v65, 0
	s_mov_b32 s0, 0
.LBB1_55:                               ;   Parent Loop BB1_12 Depth=1
                                        ; =>  This Inner Loop Header: Depth=2
	s_wait_xcnt 0x0
	s_add_co_i32 s1, s0, 0x710
	s_add_co_i32 s0, s0, 48
	s_clause 0x1
	scratch_load_b128 v[78:81], off, s1 offset:4
	scratch_load_b128 v[82:85], off, s1 offset:20
	s_cmp_lg_u32 s0, 0x630
	s_wait_loadcnt 0x1
	v_dual_lshlrev_b32 v66, 2, v78 :: v_dual_lshlrev_b32 v86, 2, v79
	v_dual_lshlrev_b32 v87, 2, v80 :: v_dual_lshlrev_b32 v88, 2, v81
	s_wait_loadcnt 0x0
	v_dual_lshlrev_b32 v89, 2, v82 :: v_dual_lshlrev_b32 v90, 2, v83
	s_delay_alu instid0(VALU_DEP_3)
	v_mad_u32 v70, 0x68, v69, v66
	scratch_load_b128 v[66:69], off, s1 offset:36
	v_dual_lshlrev_b32 v91, 2, v84 :: v_dual_lshlrev_b32 v92, 2, v85
	v_mad_u32 v78, 0x68, v78, v86
	v_mad_u32 v79, 0x68, v79, v87
	;; [unrolled: 1-line block ×7, first 2 shown]
	ds_load_b32 v70, v70
	ds_load_b32 v78, v78
	ds_load_b32 v79, v79
	ds_load_b32 v80, v80
	ds_load_b32 v81, v81
	ds_load_b32 v82, v82
	ds_load_b32 v83, v83
	ds_load_b32 v84, v84
	s_wait_dscnt 0x7
	v_add_f32_e32 v65, v65, v70
	s_wait_dscnt 0x6
	s_delay_alu instid0(VALU_DEP_1) | instskip(SKIP_1) | instid1(VALU_DEP_1)
	v_add_f32_e32 v65, v65, v78
	s_wait_dscnt 0x5
	v_add_f32_e32 v65, v65, v79
	s_wait_loadcnt_dscnt 0x4
	s_delay_alu instid0(VALU_DEP_1) | instskip(SKIP_1) | instid1(VALU_DEP_2)
	v_dual_add_f32 v65, v65, v80 :: v_dual_lshlrev_b32 v70, 2, v66
	v_dual_lshlrev_b32 v78, 2, v67 :: v_dual_lshlrev_b32 v79, 2, v68
	v_mad_u32 v70, 0x68, v85, v70
	s_delay_alu instid0(VALU_DEP_2) | instskip(SKIP_1) | instid1(VALU_DEP_4)
	v_mad_u32 v66, 0x68, v66, v78
	v_lshlrev_b32_e32 v78, 2, v69
	v_mad_u32 v67, 0x68, v67, v79
	s_wait_dscnt 0x3
	v_add_f32_e32 v65, v65, v81
	s_delay_alu instid0(VALU_DEP_3) | instskip(SKIP_1) | instid1(VALU_DEP_2)
	v_mad_u32 v68, 0x68, v68, v78
	s_wait_dscnt 0x2
	v_add_f32_e32 v65, v65, v82
	ds_load_b32 v70, v70
	ds_load_b32 v66, v66
	;; [unrolled: 1-line block ×3, first 2 shown]
	s_wait_dscnt 0x4
	v_add_f32_e32 v65, v65, v83
	ds_load_b32 v68, v68
	s_wait_dscnt 0x4
	v_add_f32_e32 v65, v65, v84
	s_wait_dscnt 0x3
	s_delay_alu instid0(VALU_DEP_1) | instskip(SKIP_1) | instid1(VALU_DEP_1)
	v_add_f32_e32 v65, v65, v70
	s_wait_dscnt 0x2
	v_add_f32_e32 v65, v65, v66
	s_wait_dscnt 0x1
	s_delay_alu instid0(VALU_DEP_1) | instskip(SKIP_1) | instid1(VALU_DEP_1)
	v_add_f32_e32 v65, v65, v67
	s_wait_dscnt 0x0
	v_add_f32_e32 v65, v65, v68
	s_cbranch_scc1 .LBB1_55
; %bb.56:                               ;   in Loop: Header=BB1_12 Depth=1
	s_mov_b32 s0, exec_lo
	s_wait_xcnt 0x0
	s_delay_alu instid0(VALU_DEP_1)
	v_cmpx_lt_f32_e32 v65, v77
	s_cbranch_execz .LBB1_11
; %bb.57:                               ;   in Loop: Header=BB1_12 Depth=1
	s_mov_b32 s1, 0
.LBB1_58:                               ;   Parent Loop BB1_12 Depth=1
                                        ; =>  This Inner Loop Header: Depth=2
	s_wait_xcnt 0x0
	s_add_co_i32 s2, s1, 0x710
	s_clause 0xa
	scratch_load_b128 v[0:3], off, s2
	scratch_load_b128 v[4:7], off, s2 offset:16
	scratch_load_b128 v[8:11], off, s2 offset:32
	;; [unrolled: 1-line block ×10, first 2 shown]
	s_wait_xcnt 0x0
	s_add_co_i32 s2, s1, 0xd50
	s_addk_co_i32 s1, 0xb0
	s_wait_loadcnt 0xa
	scratch_store_b128 off, v[0:3], s2
	s_wait_loadcnt 0x9
	scratch_store_b128 off, v[4:7], s2 offset:16
	s_wait_loadcnt 0x8
	scratch_store_b128 off, v[8:11], s2 offset:32
	s_wait_loadcnt 0x7
	scratch_store_b128 off, v[12:15], s2 offset:48
	s_wait_loadcnt 0x6
	scratch_store_b128 off, v[16:19], s2 offset:64
	s_wait_loadcnt 0x5
	scratch_store_b128 off, v[20:23], s2 offset:80
	s_wait_loadcnt 0x4
	scratch_store_b128 off, v[24:27], s2 offset:96
	s_wait_loadcnt 0x3
	scratch_store_b128 off, v[28:31], s2 offset:112
	s_wait_loadcnt 0x2
	scratch_store_b128 off, v[66:69], s2 offset:128
	s_wait_loadcnt 0x1
	scratch_store_b128 off, v[78:81], s2 offset:144
	s_wait_loadcnt 0x0
	scratch_store_b128 off, v[82:85], s2 offset:160
	s_cmp_lg_u32 s1, 0x630
	s_cbranch_scc1 .LBB1_58
; %bb.59:                               ;   in Loop: Header=BB1_12 Depth=1
	scratch_load_b32 v66, off, off offset:3392
	v_mov_b64_e32 v[0:1], v[32:33]
	v_mov_b64_e32 v[2:3], v[34:35]
	;; [unrolled: 1-line block ×16, first 2 shown]
	v_mov_b32_e32 v77, v65
	s_wait_loadcnt 0x0
	scratch_store_b32 off, v66, off offset:4992
	s_branch .LBB1_11
.LBB1_60:
	v_mul_lo_u32 v0, 0x18d, v74
	s_movk_i32 s2, 0xdd8
	s_mov_b64 s[0:1], 0
	s_delay_alu instid0(VALU_DEP_1) | instskip(SKIP_1) | instid1(VALU_DEP_1)
	v_ashrrev_i32_e32 v1, 31, v0
	s_wait_kmcnt 0x0
	v_lshl_add_u64 v[0:1], v[0:1], 2, s[64:65]
.LBB1_61:                               ; =>This Inner Loop Header: Depth=1
	s_clause 0x8
	scratch_load_b128 v[2:5], off, s2 offset:-136
	scratch_load_b128 v[6:9], off, s2 offset:-120
	;; [unrolled: 1-line block ×9, first 2 shown]
	v_add_nc_u64_e32 v[38:39], s[0:1], v[0:1]
	s_add_nc_u64 s[0:1], s[0:1], 0x90
	s_wait_xcnt 0x0
	s_addk_co_i32 s2, 0x90
	s_cmp_eq_u32 s0, 0x630
	s_wait_loadcnt 0x8
	global_store_b128 v[38:39], v[2:5], off
	s_wait_loadcnt 0x7
	global_store_b128 v[38:39], v[6:9], off offset:16
	s_wait_loadcnt 0x6
	global_store_b128 v[38:39], v[10:13], off offset:32
	;; [unrolled: 2-line block ×8, first 2 shown]
	s_cbranch_scc0 .LBB1_61
; %bb.62:
	scratch_load_b32 v2, off, off offset:4992
	s_wait_loadcnt 0x0
	global_store_b32 v[0:1], v2, off offset:1584
	s_sendmsg sendmsg(MSG_DEALLOC_VGPRS)
	s_endpgm
	.section	.rodata,"a",@progbits
	.p2align	6, 0x0
	.amdhsa_kernel _Z6decodePKfPKiPKjPi
		.amdhsa_group_segment_fixed_size 2704
		.amdhsa_private_segment_fixed_size 5136
		.amdhsa_kernarg_size 288
		.amdhsa_user_sgpr_count 2
		.amdhsa_user_sgpr_dispatch_ptr 0
		.amdhsa_user_sgpr_queue_ptr 0
		.amdhsa_user_sgpr_kernarg_segment_ptr 1
		.amdhsa_user_sgpr_dispatch_id 0
		.amdhsa_user_sgpr_kernarg_preload_length 0
		.amdhsa_user_sgpr_kernarg_preload_offset 0
		.amdhsa_user_sgpr_private_segment_size 0
		.amdhsa_wavefront_size32 1
		.amdhsa_uses_dynamic_stack 0
		.amdhsa_enable_private_segment 1
		.amdhsa_system_sgpr_workgroup_id_x 1
		.amdhsa_system_sgpr_workgroup_id_y 0
		.amdhsa_system_sgpr_workgroup_id_z 0
		.amdhsa_system_sgpr_workgroup_info 0
		.amdhsa_system_vgpr_workitem_id 0
		.amdhsa_next_free_vgpr 93
		.amdhsa_next_free_sgpr 84
		.amdhsa_named_barrier_count 0
		.amdhsa_reserve_vcc 1
		.amdhsa_float_round_mode_32 0
		.amdhsa_float_round_mode_16_64 0
		.amdhsa_float_denorm_mode_32 3
		.amdhsa_float_denorm_mode_16_64 3
		.amdhsa_fp16_overflow 0
		.amdhsa_memory_ordered 1
		.amdhsa_forward_progress 1
		.amdhsa_inst_pref_size 140
		.amdhsa_round_robin_scheduling 0
		.amdhsa_exception_fp_ieee_invalid_op 0
		.amdhsa_exception_fp_denorm_src 0
		.amdhsa_exception_fp_ieee_div_zero 0
		.amdhsa_exception_fp_ieee_overflow 0
		.amdhsa_exception_fp_ieee_underflow 0
		.amdhsa_exception_fp_ieee_inexact 0
		.amdhsa_exception_int_div_zero 0
	.end_amdhsa_kernel
	.text
.Lfunc_end1:
	.size	_Z6decodePKfPKiPKjPi, .Lfunc_end1-_Z6decodePKfPKiPKjPi
                                        ; -- End function
	.set _Z6decodePKfPKiPKjPi.num_vgpr, 93
	.set _Z6decodePKfPKiPKjPi.num_agpr, 0
	.set _Z6decodePKfPKiPKjPi.numbered_sgpr, 84
	.set _Z6decodePKfPKiPKjPi.num_named_barrier, 0
	.set _Z6decodePKfPKiPKjPi.private_seg_size, 5136
	.set _Z6decodePKfPKiPKjPi.uses_vcc, 1
	.set _Z6decodePKfPKiPKjPi.uses_flat_scratch, 1
	.set _Z6decodePKfPKiPKjPi.has_dyn_sized_stack, 0
	.set _Z6decodePKfPKiPKjPi.has_recursion, 0
	.set _Z6decodePKfPKiPKjPi.has_indirect_call, 0
	.section	.AMDGPU.csdata,"",@progbits
; Kernel info:
; codeLenInByte = 17860
; TotalNumSgprs: 86
; NumVgprs: 93
; ScratchSize: 5136
; MemoryBound: 0
; FloatMode: 240
; IeeeMode: 1
; LDSByteSize: 2704 bytes/workgroup (compile time only)
; SGPRBlocks: 0
; VGPRBlocks: 5
; NumSGPRsForWavesPerEU: 86
; NumVGPRsForWavesPerEU: 93
; NamedBarCnt: 0
; Occupancy: 10
; WaveLimiterHint : 0
; COMPUTE_PGM_RSRC2:SCRATCH_EN: 1
; COMPUTE_PGM_RSRC2:USER_SGPR: 2
; COMPUTE_PGM_RSRC2:TRAP_HANDLER: 0
; COMPUTE_PGM_RSRC2:TGID_X_EN: 1
; COMPUTE_PGM_RSRC2:TGID_Y_EN: 0
; COMPUTE_PGM_RSRC2:TGID_Z_EN: 0
; COMPUTE_PGM_RSRC2:TIDIG_COMP_CNT: 0
	.text
	.p2alignl 7, 3214868480
	.fill 96, 4, 3214868480
	.section	.AMDGPU.gpr_maximums,"",@progbits
	.set amdgpu.max_num_vgpr, 0
	.set amdgpu.max_num_agpr, 0
	.set amdgpu.max_num_sgpr, 0
	.text
	.type	__hip_cuid_a7b4ca19684e32d3,@object ; @__hip_cuid_a7b4ca19684e32d3
	.section	.bss,"aw",@nobits
	.globl	__hip_cuid_a7b4ca19684e32d3
__hip_cuid_a7b4ca19684e32d3:
	.byte	0                               ; 0x0
	.size	__hip_cuid_a7b4ca19684e32d3, 1

	.ident	"AMD clang version 22.0.0git (https://github.com/RadeonOpenCompute/llvm-project roc-7.2.4 26084 f58b06dce1f9c15707c5f808fd002e18c2accf7e)"
	.section	".note.GNU-stack","",@progbits
	.addrsig
	.addrsig_sym __hip_cuid_a7b4ca19684e32d3
	.amdgpu_metadata
---
amdhsa.kernels:
  - .args:
      - .address_space:  global
        .offset:         0
        .size:           8
        .value_kind:     global_buffer
      - .offset:         8
        .size:           4
        .value_kind:     hidden_block_count_x
      - .offset:         12
        .size:           4
        .value_kind:     hidden_block_count_y
      - .offset:         16
        .size:           4
        .value_kind:     hidden_block_count_z
      - .offset:         20
        .size:           2
        .value_kind:     hidden_group_size_x
      - .offset:         22
        .size:           2
        .value_kind:     hidden_group_size_y
      - .offset:         24
        .size:           2
        .value_kind:     hidden_group_size_z
      - .offset:         26
        .size:           2
        .value_kind:     hidden_remainder_x
      - .offset:         28
        .size:           2
        .value_kind:     hidden_remainder_y
      - .offset:         30
        .size:           2
        .value_kind:     hidden_remainder_z
      - .offset:         48
        .size:           8
        .value_kind:     hidden_global_offset_x
      - .offset:         56
        .size:           8
        .value_kind:     hidden_global_offset_y
      - .offset:         64
        .size:           8
        .value_kind:     hidden_global_offset_z
      - .offset:         72
        .size:           2
        .value_kind:     hidden_grid_dims
    .group_segment_fixed_size: 0
    .kernarg_segment_align: 8
    .kernarg_segment_size: 264
    .language:       OpenCL C
    .language_version:
      - 2
      - 0
    .max_flat_workgroup_size: 1024
    .name:           _Z11setupKernelPj
    .private_segment_fixed_size: 0
    .sgpr_count:     8
    .sgpr_spill_count: 0
    .symbol:         _Z11setupKernelPj.kd
    .uniform_work_group_size: 1
    .uses_dynamic_stack: false
    .vgpr_count:     4
    .vgpr_spill_count: 0
    .wavefront_size: 32
  - .args:
      - .actual_access:  read_only
        .address_space:  global
        .offset:         0
        .size:           8
        .value_kind:     global_buffer
      - .actual_access:  read_only
        .address_space:  global
        .offset:         8
        .size:           8
        .value_kind:     global_buffer
      - .actual_access:  read_only
        .address_space:  global
        .offset:         16
        .size:           8
        .value_kind:     global_buffer
      - .actual_access:  write_only
        .address_space:  global
        .offset:         24
        .size:           8
        .value_kind:     global_buffer
      - .offset:         32
        .size:           4
        .value_kind:     hidden_block_count_x
      - .offset:         36
        .size:           4
        .value_kind:     hidden_block_count_y
      - .offset:         40
        .size:           4
        .value_kind:     hidden_block_count_z
      - .offset:         44
        .size:           2
        .value_kind:     hidden_group_size_x
      - .offset:         46
        .size:           2
        .value_kind:     hidden_group_size_y
      - .offset:         48
        .size:           2
        .value_kind:     hidden_group_size_z
      - .offset:         50
        .size:           2
        .value_kind:     hidden_remainder_x
      - .offset:         52
        .size:           2
        .value_kind:     hidden_remainder_y
      - .offset:         54
        .size:           2
        .value_kind:     hidden_remainder_z
      - .offset:         72
        .size:           8
        .value_kind:     hidden_global_offset_x
      - .offset:         80
        .size:           8
        .value_kind:     hidden_global_offset_y
      - .offset:         88
        .size:           8
        .value_kind:     hidden_global_offset_z
      - .offset:         96
        .size:           2
        .value_kind:     hidden_grid_dims
    .group_segment_fixed_size: 2704
    .kernarg_segment_align: 8
    .kernarg_segment_size: 288
    .language:       OpenCL C
    .language_version:
      - 2
      - 0
    .max_flat_workgroup_size: 1024
    .name:           _Z6decodePKfPKiPKjPi
    .private_segment_fixed_size: 5136
    .sgpr_count:     86
    .sgpr_spill_count: 0
    .symbol:         _Z6decodePKfPKiPKjPi.kd
    .uniform_work_group_size: 1
    .uses_dynamic_stack: false
    .vgpr_count:     93
    .vgpr_spill_count: 0
    .wavefront_size: 32
amdhsa.target:   amdgcn-amd-amdhsa--gfx1250
amdhsa.version:
  - 1
  - 2
...

	.end_amdgpu_metadata
